;; amdgpu-corpus repo=ROCm/rocFFT kind=compiled arch=gfx1201 opt=O3
	.text
	.amdgcn_target "amdgcn-amd-amdhsa--gfx1201"
	.amdhsa_code_object_version 6
	.protected	bluestein_single_back_len1377_dim1_half_op_CI_CI ; -- Begin function bluestein_single_back_len1377_dim1_half_op_CI_CI
	.globl	bluestein_single_back_len1377_dim1_half_op_CI_CI
	.p2align	8
	.type	bluestein_single_back_len1377_dim1_half_op_CI_CI,@function
bluestein_single_back_len1377_dim1_half_op_CI_CI: ; @bluestein_single_back_len1377_dim1_half_op_CI_CI
; %bb.0:
	s_load_b128 s[12:15], s[0:1], 0x28
	v_mul_u32_u24_e32 v1, 0x506, v0
	s_mov_b32 s2, exec_lo
	v_mov_b32_e32 v5, 0
	s_delay_alu instid0(VALU_DEP_2) | instskip(NEXT) | instid1(VALU_DEP_1)
	v_lshrrev_b32_e32 v1, 16, v1
	v_add_nc_u32_e32 v4, ttmp9, v1
	s_wait_kmcnt 0x0
	s_delay_alu instid0(VALU_DEP_1)
	v_cmpx_gt_u64_e64 s[12:13], v[4:5]
	s_cbranch_execz .LBB0_15
; %bb.1:
	s_clause 0x1
	s_load_b128 s[4:7], s[0:1], 0x18
	s_load_b64 s[12:13], s[0:1], 0x0
	v_mul_lo_u16 v1, v1, 51
	s_delay_alu instid0(VALU_DEP_1) | instskip(NEXT) | instid1(VALU_DEP_1)
	v_sub_nc_u16 v8, v0, v1
	v_and_b32_e32 v115, 0xffff, v8
	s_delay_alu instid0(VALU_DEP_1)
	v_dual_mov_b32 v5, v4 :: v_dual_lshlrev_b32 v88, 2, v115
	scratch_store_b64 off, v[5:6], off offset:108 ; 8-byte Folded Spill
	s_wait_kmcnt 0x0
	s_load_b128 s[8:11], s[4:5], 0x0
	s_clause 0x10
	global_load_b32 v120, v88, s[12:13]
	global_load_b32 v119, v88, s[12:13] offset:324
	global_load_b32 v117, v88, s[12:13] offset:648
	;; [unrolled: 1-line block ×16, first 2 shown]
	s_wait_kmcnt 0x0
	v_mad_co_u64_u32 v[0:1], null, s10, v4, 0
	v_mad_co_u64_u32 v[2:3], null, s8, v115, 0
	s_mul_u64 s[2:3], s[8:9], 0x51
	s_delay_alu instid0(VALU_DEP_1) | instskip(NEXT) | instid1(VALU_DEP_1)
	v_mad_co_u64_u32 v[4:5], null, s11, v4, v[1:2]
	v_mad_co_u64_u32 v[5:6], null, s9, v115, v[3:4]
	v_dual_mov_b32 v1, v4 :: v_dual_add_nc_u32 v4, 0x800, v88
	s_delay_alu instid0(VALU_DEP_1) | instskip(NEXT) | instid1(VALU_DEP_3)
	v_lshlrev_b64_e32 v[0:1], 2, v[0:1]
	v_mov_b32_e32 v3, v5
	v_add_nc_u32_e32 v5, 0xc00, v88
	s_delay_alu instid0(VALU_DEP_3) | instskip(NEXT) | instid1(VALU_DEP_3)
	v_add_co_u32 v0, vcc_lo, s14, v0
	v_lshlrev_b64_e32 v[2:3], 2, v[2:3]
	v_add_co_ci_u32_e32 v1, vcc_lo, s15, v1, vcc_lo
	s_lshl_b64 s[14:15], s[2:3], 2
	v_add_co_u32 v16, s2, s12, v88
	s_delay_alu instid0(VALU_DEP_3)
	v_add_co_u32 v0, vcc_lo, v0, v2
	s_wait_alu 0xfffd
	v_add_co_ci_u32_e32 v1, vcc_lo, v1, v3, vcc_lo
	v_add_co_ci_u32_e64 v17, null, s13, 0, s2
	global_load_b32 v6, v[0:1], off
	s_wait_alu 0xfffe
	v_add_co_u32 v0, vcc_lo, v0, s14
	s_wait_alu 0xfffd
	v_add_co_ci_u32_e32 v1, vcc_lo, s15, v1, vcc_lo
	s_delay_alu instid0(VALU_DEP_2) | instskip(SKIP_1) | instid1(VALU_DEP_2)
	v_add_co_u32 v2, vcc_lo, v0, s14
	s_wait_alu 0xfffd
	v_add_co_ci_u32_e32 v3, vcc_lo, s15, v1, vcc_lo
	global_load_b32 v7, v[0:1], off
	v_add_co_u32 v0, vcc_lo, v2, s14
	s_wait_alu 0xfffd
	v_add_co_ci_u32_e32 v1, vcc_lo, s15, v3, vcc_lo
	s_clause 0x1
	global_load_b32 v9, v[2:3], off
	global_load_b32 v10, v[0:1], off
	v_add_co_u32 v0, vcc_lo, v0, s14
	s_wait_alu 0xfffd
	v_add_co_ci_u32_e32 v1, vcc_lo, s15, v1, vcc_lo
	s_delay_alu instid0(VALU_DEP_2) | instskip(SKIP_1) | instid1(VALU_DEP_2)
	v_add_co_u32 v2, vcc_lo, v0, s14
	s_wait_alu 0xfffd
	v_add_co_ci_u32_e32 v3, vcc_lo, s15, v1, vcc_lo
	global_load_b32 v11, v[0:1], off
	v_add_co_u32 v0, vcc_lo, v2, s14
	s_wait_alu 0xfffd
	v_add_co_ci_u32_e32 v1, vcc_lo, s15, v3, vcc_lo
	global_load_b32 v12, v[2:3], off
	global_load_b32 v13, v[0:1], off
	v_add_co_u32 v0, vcc_lo, v0, s14
	s_wait_alu 0xfffd
	v_add_co_ci_u32_e32 v1, vcc_lo, s15, v1, vcc_lo
	s_delay_alu instid0(VALU_DEP_2) | instskip(SKIP_1) | instid1(VALU_DEP_2)
	v_add_co_u32 v2, vcc_lo, v0, s14
	s_wait_alu 0xfffd
	v_add_co_ci_u32_e32 v3, vcc_lo, s15, v1, vcc_lo
	global_load_b32 v14, v[0:1], off
	v_add_co_u32 v0, vcc_lo, v2, s14
	s_wait_alu 0xfffd
	v_add_co_ci_u32_e32 v1, vcc_lo, s15, v3, vcc_lo
	global_load_b32 v15, v[2:3], off
	global_load_b32 v19, v[0:1], off
	v_add_co_u32 v0, vcc_lo, v0, s14
	s_wait_alu 0xfffd
	v_add_co_ci_u32_e32 v1, vcc_lo, s15, v1, vcc_lo
	s_delay_alu instid0(VALU_DEP_2) | instskip(SKIP_1) | instid1(VALU_DEP_2)
	v_add_co_u32 v2, vcc_lo, v0, s14
	s_wait_alu 0xfffd
	v_add_co_ci_u32_e32 v3, vcc_lo, s15, v1, vcc_lo
	global_load_b32 v20, v[0:1], off
	global_load_b32 v21, v[2:3], off
	v_add_co_u32 v0, vcc_lo, v2, s14
	s_wait_alu 0xfffd
	v_add_co_ci_u32_e32 v1, vcc_lo, s15, v3, vcc_lo
	s_delay_alu instid0(VALU_DEP_2) | instskip(SKIP_1) | instid1(VALU_DEP_2)
	v_add_co_u32 v2, vcc_lo, v0, s14
	s_wait_alu 0xfffd
	v_add_co_ci_u32_e32 v3, vcc_lo, s15, v1, vcc_lo
	global_load_b32 v22, v[0:1], off
	v_add_co_u32 v0, vcc_lo, v2, s14
	s_wait_alu 0xfffd
	v_add_co_ci_u32_e32 v1, vcc_lo, s15, v3, vcc_lo
	global_load_b32 v23, v[2:3], off
	;; [unrolled: 4-line block ×4, first 2 shown]
	global_load_b32 v26, v[0:1], off
	s_load_b64 s[10:11], s[0:1], 0x38
	s_load_b128 s[4:7], s[6:7], 0x0
	v_add_nc_u32_e32 v2, 0x400, v88
	v_add_nc_u32_e32 v3, 0x600, v88
	v_cmp_gt_u16_e32 vcc_lo, 30, v8
	s_wait_loadcnt 0x21
	v_lshrrev_b32_e32 v29, 16, v120
	s_wait_loadcnt 0x20
	v_lshrrev_b32_e32 v60, 16, v119
	;; [unrolled: 2-line block ×17, first 2 shown]
	s_clause 0x1b
	scratch_store_b32 off, v57, off offset:100
	scratch_store_b32 off, v58, off offset:104
	scratch_store_b32 off, v59, off offset:116
	scratch_store_b32 off, v56, off offset:96
	scratch_store_b32 off, v54, off offset:88
	scratch_store_b32 off, v52, off offset:80
	scratch_store_b32 off, v49, off offset:68
	scratch_store_b32 off, v50, off offset:72
	scratch_store_b32 off, v51, off offset:76
	scratch_store_b32 off, v53, off offset:84
	scratch_store_b32 off, v55, off offset:92
	scratch_store_b32 off, v48, off offset:64
	scratch_store_b32 off, v46, off offset:56
	scratch_store_b32 off, v43, off offset:44
	scratch_store_b32 off, v44, off offset:48
	scratch_store_b32 off, v45, off offset:52
	scratch_store_b32 off, v47, off offset:60
	scratch_store_b32 off, v42, off offset:40
	scratch_store_b32 off, v41, off offset:36
	scratch_store_b32 off, v40, off offset:32
	scratch_store_b32 off, v35, off offset:12
	scratch_store_b32 off, v36, off offset:16
	scratch_store_b32 off, v39, off offset:28
	scratch_store_b32 off, v38, off offset:24
	scratch_store_b32 off, v37, off offset:20
	scratch_store_b32 off, v34, off offset:8
	scratch_store_b32 off, v33, off offset:4
	scratch_store_b32 off, v18, off
	s_wait_loadcnt 0x10
	v_lshrrev_b32_e32 v27, 16, v6
	v_mul_f16_e32 v28, v29, v6
	s_delay_alu instid0(VALU_DEP_2) | instskip(NEXT) | instid1(VALU_DEP_2)
	v_mul_f16_e32 v29, v29, v27
	v_fma_f16 v27, v120, v27, -v28
	s_wait_loadcnt 0xf
	v_lshrrev_b32_e32 v30, 16, v7
	v_mul_f16_e32 v31, v60, v7
	v_fmac_f16_e32 v29, v120, v6
	s_delay_alu instid0(VALU_DEP_3)
	v_mul_f16_e32 v6, v60, v30
	s_wait_loadcnt 0xe
	v_lshrrev_b32_e32 v28, 16, v9
	v_fma_f16 v30, v119, v30, -v31
	v_mul_f16_e32 v31, v32, v9
	v_pack_b32_f16 v27, v29, v27
	v_fmac_f16_e32 v6, v119, v7
	v_mul_f16_e32 v7, v32, v28
	s_wait_loadcnt 0xd
	v_lshrrev_b32_e32 v29, 16, v10
	v_mul_f16_e32 v32, v59, v10
	v_fma_f16 v28, v117, v28, -v31
	v_pack_b32_f16 v6, v6, v30
	v_fmac_f16_e32 v7, v117, v9
	v_mul_f16_e32 v9, v59, v29
	s_wait_loadcnt 0xc
	v_lshrrev_b32_e32 v30, 16, v11
	v_fma_f16 v29, v57, v29, -v32
	v_mul_f16_e32 v31, v58, v11
	ds_store_2addr_b32 v88, v27, v6 offset1:81
	v_pack_b32_f16 v6, v7, v28
	v_fmac_f16_e32 v9, v57, v10
	v_mul_f16_e32 v7, v58, v30
	s_wait_loadcnt 0xb
	v_lshrrev_b32_e32 v10, 16, v12
	v_mul_f16_e32 v27, v56, v12
	v_fma_f16 v28, v55, v30, -v31
	v_pack_b32_f16 v9, v9, v29
	v_fmac_f16_e32 v7, v55, v11
	v_mul_f16_e32 v11, v56, v10
	v_fma_f16 v10, v53, v10, -v27
	s_wait_loadcnt 0xa
	v_lshrrev_b32_e32 v27, 16, v13
	v_mul_f16_e32 v29, v54, v13
	ds_store_2addr_b32 v88, v6, v9 offset0:162 offset1:243
	v_pack_b32_f16 v6, v7, v28
	v_fmac_f16_e32 v11, v53, v12
	v_mul_f16_e32 v7, v54, v27
	s_wait_loadcnt 0x9
	v_lshrrev_b32_e32 v9, 16, v14
	v_mul_f16_e32 v12, v52, v14
	v_fma_f16 v27, v51, v27, -v29
	v_pack_b32_f16 v10, v11, v10
	v_fmac_f16_e32 v7, v51, v13
	v_mul_f16_e32 v11, v52, v9
	v_fma_f16 v9, v49, v9, -v12
	s_wait_loadcnt 0x8
	v_lshrrev_b32_e32 v12, 16, v15
	v_mul_f16_e32 v13, v50, v15
	ds_store_2addr_b32 v2, v6, v10 offset0:68 offset1:149
	v_pack_b32_f16 v6, v7, v27
	v_fmac_f16_e32 v11, v49, v14
	v_mul_f16_e32 v7, v50, v12
	s_wait_loadcnt 0x7
	v_lshrrev_b32_e32 v10, 16, v19
	v_mul_f16_e32 v14, v48, v19
	v_fma_f16 v12, v47, v12, -v13
	v_pack_b32_f16 v9, v11, v9
	v_fmac_f16_e32 v7, v47, v15
	v_mul_f16_e32 v11, v48, v10
	s_wait_loadcnt 0x6
	v_lshrrev_b32_e32 v13, 16, v20
	v_fma_f16 v10, v45, v10, -v14
	v_mul_f16_e32 v14, v46, v20
	ds_store_2addr_b32 v3, v6, v9 offset0:102 offset1:183
	v_pack_b32_f16 v6, v7, v12
	v_fmac_f16_e32 v11, v45, v19
	v_mul_f16_e32 v7, v46, v13
	s_wait_loadcnt 0x5
	v_lshrrev_b32_e32 v9, 16, v21
	v_mul_f16_e32 v12, v44, v21
	v_fma_f16 v13, v43, v13, -v14
	v_pack_b32_f16 v10, v11, v10
	v_fmac_f16_e32 v7, v43, v20
	v_mul_f16_e32 v11, v44, v9
	v_fma_f16 v9, v42, v9, -v12
	s_wait_loadcnt 0x4
	v_lshrrev_b32_e32 v12, 16, v22
	v_mul_f16_e32 v14, v41, v22
	ds_store_2addr_b32 v4, v6, v10 offset0:136 offset1:217
	v_pack_b32_f16 v10, v7, v13
	v_fmac_f16_e32 v11, v42, v21
	v_mul_f16_e32 v6, v41, v12
	s_wait_loadcnt 0x3
	v_lshrrev_b32_e32 v7, 16, v23
	v_fma_f16 v12, v40, v12, -v14
	v_mul_f16_e32 v13, v39, v23
	v_pack_b32_f16 v9, v11, v9
	v_fmac_f16_e32 v6, v40, v22
	v_mul_f16_e32 v11, v39, v7
	s_wait_loadcnt 0x2
	v_lshrrev_b32_e32 v14, 16, v24
	v_fma_f16 v7, v38, v7, -v13
	v_mul_f16_e32 v13, v37, v24
	v_pack_b32_f16 v12, v6, v12
	v_fmac_f16_e32 v11, v38, v23
	s_wait_loadcnt 0x1
	v_lshrrev_b32_e32 v6, 16, v25
	s_wait_loadcnt 0x0
	v_lshrrev_b32_e32 v19, 16, v26
	v_mul_f16_e32 v15, v37, v14
	v_fma_f16 v13, v36, v14, -v13
	v_mul_f16_e32 v14, v35, v25
	v_pack_b32_f16 v11, v11, v7
	v_mul_f16_e32 v7, v35, v6
	v_mul_f16_e32 v20, v34, v19
	;; [unrolled: 1-line block ×3, first 2 shown]
	v_fma_f16 v14, v33, v6, -v14
	v_fmac_f16_e32 v15, v36, v24
	v_fmac_f16_e32 v7, v33, v25
	;; [unrolled: 1-line block ×3, first 2 shown]
	v_fma_f16 v19, v18, v19, -v21
	v_add_nc_u32_e32 v6, 0xe00, v88
	v_pack_b32_f16 v13, v15, v13
	v_pack_b32_f16 v14, v7, v14
	v_add_nc_u32_e32 v7, 0x1000, v88
	v_pack_b32_f16 v15, v20, v19
	ds_store_2addr_b32 v5, v10, v9 offset0:42 offset1:123
	ds_store_2addr_b32 v6, v12, v11 offset0:76 offset1:157
	;; [unrolled: 1-line block ×3, first 2 shown]
	ds_store_b32 v88, v15 offset:5184
	s_and_saveexec_b32 s3, vcc_lo
	s_cbranch_execz .LBB0_3
; %bb.2:
	v_mad_co_u64_u32 v[0:1], null, 0xffffec8c, s8, v[0:1]
	s_mul_i32 s2, s9, 0xffffec8c
	s_wait_alu 0xfffe
	s_sub_co_i32 s2, s2, s8
	s_wait_alu 0xfffe
	s_delay_alu instid0(VALU_DEP_1) | instskip(NEXT) | instid1(VALU_DEP_2)
	v_add_nc_u32_e32 v1, s2, v1
	v_add_co_u32 v8, s2, v0, s14
	s_wait_alu 0xf1ff
	s_delay_alu instid0(VALU_DEP_2)
	v_add_co_ci_u32_e64 v9, s2, s15, v1, s2
	s_clause 0x7
	global_load_b32 v12, v[16:17], off offset:204
	global_load_b32 v13, v[16:17], off offset:528
	;; [unrolled: 1-line block ×8, first 2 shown]
	global_load_b32 v23, v[0:1], off
	global_load_b32 v24, v[8:9], off
	s_clause 0x7
	global_load_b32 v25, v[16:17], off offset:2796
	global_load_b32 v26, v[16:17], off offset:3120
	;; [unrolled: 1-line block ×8, first 2 shown]
	v_add_co_u32 v0, s2, v8, s14
	s_wait_alu 0xf1ff
	v_add_co_ci_u32_e64 v1, s2, s15, v9, s2
	global_load_b32 v33, v[16:17], off offset:5388
	v_add_co_u32 v8, s2, v0, s14
	s_wait_alu 0xf1ff
	v_add_co_ci_u32_e64 v9, s2, s15, v1, s2
	global_load_b32 v34, v[0:1], off
	v_add_co_u32 v0, s2, v8, s14
	s_wait_alu 0xf1ff
	v_add_co_ci_u32_e64 v1, s2, s15, v9, s2
	global_load_b32 v35, v[8:9], off
	global_load_b32 v36, v[0:1], off
	v_add_co_u32 v0, s2, v0, s14
	s_wait_alu 0xf1ff
	v_add_co_ci_u32_e64 v1, s2, s15, v1, s2
	s_delay_alu instid0(VALU_DEP_2) | instskip(SKIP_1) | instid1(VALU_DEP_2)
	v_add_co_u32 v8, s2, v0, s14
	s_wait_alu 0xf1ff
	v_add_co_ci_u32_e64 v9, s2, s15, v1, s2
	global_load_b32 v37, v[0:1], off
	v_add_co_u32 v0, s2, v8, s14
	s_wait_alu 0xf1ff
	v_add_co_ci_u32_e64 v1, s2, s15, v9, s2
	global_load_b32 v38, v[8:9], off
	global_load_b32 v39, v[0:1], off
	v_add_co_u32 v0, s2, v0, s14
	s_wait_alu 0xf1ff
	v_add_co_ci_u32_e64 v1, s2, s15, v1, s2
	s_delay_alu instid0(VALU_DEP_2) | instskip(SKIP_1) | instid1(VALU_DEP_2)
	v_add_co_u32 v8, s2, v0, s14
	s_wait_alu 0xf1ff
	v_add_co_ci_u32_e64 v9, s2, s15, v1, s2
	global_load_b32 v40, v[0:1], off
	global_load_b32 v41, v[8:9], off
	v_add_co_u32 v0, s2, v8, s14
	s_wait_alu 0xf1ff
	v_add_co_ci_u32_e64 v1, s2, s15, v9, s2
	s_delay_alu instid0(VALU_DEP_2) | instskip(SKIP_1) | instid1(VALU_DEP_2)
	v_add_co_u32 v8, s2, v0, s14
	s_wait_alu 0xf1ff
	v_add_co_ci_u32_e64 v9, s2, s15, v1, s2
	global_load_b32 v42, v[0:1], off
	v_add_co_u32 v0, s2, v8, s14
	s_wait_alu 0xf1ff
	v_add_co_ci_u32_e64 v1, s2, s15, v9, s2
	global_load_b32 v43, v[8:9], off
	;; [unrolled: 4-line block ×4, first 2 shown]
	v_add_co_u32 v8, s2, v0, s14
	s_wait_alu 0xf1ff
	v_add_co_ci_u32_e64 v9, s2, s15, v1, s2
	s_delay_alu instid0(VALU_DEP_2) | instskip(SKIP_1) | instid1(VALU_DEP_2)
	v_add_co_u32 v10, s2, v8, s14
	s_wait_alu 0xf1ff
	v_add_co_ci_u32_e64 v11, s2, s15, v9, s2
	global_load_b32 v0, v[0:1], off
	global_load_b32 v1, v[8:9], off
	;; [unrolled: 1-line block ×3, first 2 shown]
	v_add_nc_u32_e32 v9, 0x200, v88
	v_add_nc_u32_e32 v10, 0xa00, v88
	s_wait_loadcnt 0x21
	v_lshrrev_b32_e32 v11, 16, v12
	s_wait_loadcnt 0x20
	v_lshrrev_b32_e32 v46, 16, v13
	s_wait_loadcnt 0x1f
	v_lshrrev_b32_e32 v47, 16, v14
	s_wait_loadcnt 0x1e
	v_lshrrev_b32_e32 v48, 16, v15
	s_wait_loadcnt 0x1d
	v_lshrrev_b32_e32 v49, 16, v19
	s_wait_loadcnt 0x1c
	v_lshrrev_b32_e32 v50, 16, v20
	s_wait_loadcnt 0x1b
	v_lshrrev_b32_e32 v51, 16, v21
	s_wait_loadcnt 0x1a
	v_lshrrev_b32_e32 v52, 16, v22
	s_wait_loadcnt 0x19
	v_lshrrev_b32_e32 v58, 16, v23
	v_mul_f16_e32 v62, v11, v23
	s_wait_loadcnt 0x18
	v_lshrrev_b32_e32 v63, 16, v24
	v_mul_f16_e32 v65, v46, v24
	s_wait_loadcnt 0x17
	v_lshrrev_b32_e32 v53, 16, v25
	v_mul_f16_e32 v11, v11, v58
	v_fma_f16 v58, v12, v58, -v62
	s_wait_loadcnt 0x16
	v_lshrrev_b32_e32 v54, 16, v26
	s_wait_loadcnt 0x15
	v_lshrrev_b32_e32 v55, 16, v27
	;; [unrolled: 2-line block ×3, first 2 shown]
	v_fmac_f16_e32 v11, v12, v23
	v_mul_f16_e32 v12, v46, v63
	v_fma_f16 v46, v13, v63, -v65
	s_wait_loadcnt 0x13
	v_lshrrev_b32_e32 v57, 16, v29
	s_wait_loadcnt 0x12
	v_lshrrev_b32_e32 v59, 16, v30
	v_pack_b32_f16 v11, v11, v58
	v_fmac_f16_e32 v12, v13, v24
	s_wait_loadcnt 0x11
	v_lshrrev_b32_e32 v60, 16, v31
	s_wait_loadcnt 0x10
	v_lshrrev_b32_e32 v61, 16, v32
	;; [unrolled: 2-line block ×3, first 2 shown]
	v_mul_f16_e32 v62, v47, v34
	v_pack_b32_f16 v12, v12, v46
	v_lshrrev_b32_e32 v64, 16, v33
	s_delay_alu instid0(VALU_DEP_4)
	v_mul_f16_e32 v13, v47, v23
	s_wait_loadcnt 0xd
	v_lshrrev_b32_e32 v24, 16, v35
	v_mul_f16_e32 v47, v48, v35
	v_fma_f16 v23, v14, v23, -v62
	s_wait_loadcnt 0xc
	v_mul_f16_e32 v46, v49, v36
	v_fmac_f16_e32 v13, v14, v34
	v_mul_f16_e32 v14, v48, v24
	v_lshrrev_b32_e32 v34, 16, v36
	v_fma_f16 v24, v15, v24, -v47
	ds_store_2addr_b32 v88, v11, v12 offset0:51 offset1:132
	v_pack_b32_f16 v11, v13, v23
	v_fmac_f16_e32 v14, v15, v35
	v_mul_f16_e32 v12, v49, v34
	s_wait_loadcnt 0xb
	v_lshrrev_b32_e32 v13, 16, v37
	v_mul_f16_e32 v15, v50, v37
	v_fma_f16 v23, v19, v34, -v46
	v_pack_b32_f16 v14, v14, v24
	v_fmac_f16_e32 v12, v19, v36
	v_mul_f16_e32 v19, v50, v13
	v_fma_f16 v13, v20, v13, -v15
	s_wait_loadcnt 0xa
	v_lshrrev_b32_e32 v15, 16, v38
	v_mul_f16_e32 v24, v51, v38
	ds_store_2addr_b32 v9, v11, v14 offset0:85 offset1:166
	v_pack_b32_f16 v9, v12, v23
	v_fmac_f16_e32 v19, v20, v37
	v_mul_f16_e32 v11, v51, v15
	s_wait_loadcnt 0x9
	v_lshrrev_b32_e32 v12, 16, v39
	v_mul_f16_e32 v14, v52, v39
	v_fma_f16 v15, v21, v15, -v24
	v_pack_b32_f16 v13, v19, v13
	v_fmac_f16_e32 v11, v21, v38
	v_mul_f16_e32 v19, v52, v12
	v_fma_f16 v12, v22, v12, -v14
	s_wait_loadcnt 0x8
	v_lshrrev_b32_e32 v14, 16, v40
	v_mul_f16_e32 v20, v53, v40
	ds_store_2addr_b32 v2, v9, v13 offset0:119 offset1:200
	v_pack_b32_f16 v9, v11, v15
	v_fmac_f16_e32 v19, v22, v39
	v_mul_f16_e32 v11, v53, v14
	s_wait_loadcnt 0x7
	v_lshrrev_b32_e32 v13, 16, v41
	v_mul_f16_e32 v15, v54, v41
	v_fma_f16 v14, v25, v14, -v20
	v_pack_b32_f16 v12, v19, v12
	v_fmac_f16_e32 v11, v25, v40
	v_mul_f16_e32 v19, v54, v13
	v_fma_f16 v13, v26, v13, -v15
	s_wait_loadcnt 0x6
	v_lshrrev_b32_e32 v15, 16, v42
	v_mul_f16_e32 v20, v55, v42
	ds_store_2addr_b32 v4, v9, v12 offset0:25 offset1:106
	v_pack_b32_f16 v9, v11, v14
	v_fmac_f16_e32 v19, v26, v41
	v_mul_f16_e32 v11, v55, v15
	s_wait_loadcnt 0x5
	v_lshrrev_b32_e32 v12, 16, v43
	v_mul_f16_e32 v14, v56, v43
	v_fma_f16 v15, v27, v15, -v20
	v_pack_b32_f16 v13, v19, v13
	v_fmac_f16_e32 v11, v27, v42
	v_mul_f16_e32 v19, v56, v12
	v_fma_f16 v12, v28, v12, -v14
	s_wait_loadcnt 0x4
	v_lshrrev_b32_e32 v14, 16, v44
	v_mul_f16_e32 v20, v57, v44
	v_pack_b32_f16 v11, v11, v15
	v_fmac_f16_e32 v19, v28, v43
	s_wait_loadcnt 0x3
	v_lshrrev_b32_e32 v15, 16, v45
	v_mul_f16_e32 v22, v59, v45
	v_mul_f16_e32 v21, v57, v14
	v_fma_f16 v14, v29, v14, -v20
	v_pack_b32_f16 v12, v19, v12
	v_mul_f16_e32 v19, v59, v15
	v_fma_f16 v15, v30, v15, -v22
	s_wait_loadcnt 0x2
	v_lshrrev_b32_e32 v20, 16, v0
	v_mul_f16_e32 v22, v60, v0
	s_wait_loadcnt 0x1
	v_lshrrev_b32_e32 v23, 16, v1
	s_wait_loadcnt 0x0
	v_lshrrev_b32_e32 v24, 16, v8
	v_mul_f16_e32 v28, v64, v8
	v_mul_f16_e32 v25, v60, v20
	v_fma_f16 v20, v31, v20, -v22
	v_mul_f16_e32 v22, v61, v1
	v_mul_f16_e32 v26, v61, v23
	;; [unrolled: 1-line block ×3, first 2 shown]
	v_fmac_f16_e32 v21, v29, v44
	v_fmac_f16_e32 v19, v30, v45
	;; [unrolled: 1-line block ×3, first 2 shown]
	v_fma_f16 v0, v32, v23, -v22
	v_fmac_f16_e32 v26, v32, v1
	v_fmac_f16_e32 v27, v33, v8
	v_fma_f16 v1, v33, v24, -v28
	v_pack_b32_f16 v8, v21, v14
	v_pack_b32_f16 v14, v19, v15
	;; [unrolled: 1-line block ×5, first 2 shown]
	ds_store_2addr_b32 v10, v9, v13 offset0:59 offset1:140
	ds_store_2addr_b32 v5, v11, v12 offset0:93 offset1:174
	;; [unrolled: 1-line block ×4, first 2 shown]
	ds_store_b32 v88, v1 offset:5388
.LBB0_3:
	s_wait_alu 0xfffe
	s_or_b32 exec_lo, exec_lo, s3
	global_wb scope:SCOPE_SE
	s_wait_storecnt_dscnt 0x0
	s_wait_kmcnt 0x0
	s_barrier_signal -1
	s_barrier_wait -1
	global_inv scope:SCOPE_SE
	ds_load_2addr_b32 v[25:26], v88 offset1:81
	ds_load_2addr_b32 v[29:30], v88 offset0:162 offset1:243
	ds_load_2addr_b32 v[33:34], v2 offset0:68 offset1:149
	;; [unrolled: 1-line block ×7, first 2 shown]
	ds_load_b32 v133, v88 offset:5184
	s_load_b64 s[0:1], s[0:1], 0x8
	v_mov_b32_e32 v0, 0
                                        ; kill: def $vgpr1 killed $sgpr0 killed $exec
                                        ; implicit-def: $vgpr41
                                        ; implicit-def: $vgpr3
                                        ; implicit-def: $vgpr5
                                        ; implicit-def: $vgpr7
                                        ; implicit-def: $vgpr9
                                        ; implicit-def: $vgpr13
                                        ; implicit-def: $vgpr11
                                        ; implicit-def: $vgpr15
                                        ; implicit-def: $vgpr135
	s_and_saveexec_b32 s2, vcc_lo
	s_cbranch_execz .LBB0_5
; %bb.4:
	v_add_nc_u32_e32 v2, 0x200, v88
	v_add_nc_u32_e32 v3, 0x400, v88
	;; [unrolled: 1-line block ×3, first 2 shown]
	ds_load_2addr_b32 v[0:1], v88 offset0:51 offset1:132
	v_add_nc_u32_e32 v5, 0xe00, v88
	ds_load_2addr_b32 v[14:15], v2 offset0:85 offset1:166
	ds_load_2addr_b32 v[10:11], v3 offset0:119 offset1:200
	v_add_nc_u32_e32 v2, 0xa00, v88
	v_add_nc_u32_e32 v3, 0xc00, v88
	;; [unrolled: 1-line block ×3, first 2 shown]
	ds_load_2addr_b32 v[12:13], v4 offset0:25 offset1:106
	ds_load_2addr_b32 v[8:9], v2 offset0:59 offset1:140
	;; [unrolled: 1-line block ×5, first 2 shown]
	ds_load_b32 v41, v88 offset:5388
	s_wait_dscnt 0x7
	v_alignbit_b32 v135, v14, v14, 16
.LBB0_5:
	s_wait_alu 0xfffe
	s_or_b32 exec_lo, exec_lo, s2
	s_wait_dscnt 0x0
	v_pk_add_f16 v14, v1, v41 neg_lo:[0,1] neg_hi:[0,1]
	v_pk_add_f16 v44, v135, v3 op_sel:[1,0] op_sel_hi:[0,1] neg_lo:[0,1] neg_hi:[0,1]
	v_pk_add_f16 v42, v41, v1
	v_pk_add_f16 v43, v3, v135 op_sel:[1,0] op_sel_hi:[0,1]
	v_pk_add_f16 v61, v15, v2 neg_lo:[0,1] neg_hi:[0,1]
	v_lshrrev_b32_e32 v124, 16, v14
	v_lshrrev_b32_e32 v125, 16, v44
	v_pk_mul_f16 v57, 0x3b7639e9, v42
	v_lshrrev_b32_e32 v45, 16, v43
	v_pk_mul_f16 v130, 0xbbf7b964, v44
	v_mul_f16_e32 v56, 0xbb29, v124
	v_mul_f16_e32 v47, 0xba62, v125
	v_pk_fma_f16 v46, 0xb964b5c8, v14, v57 op_sel:[0,0,1] op_sel_hi:[1,1,0]
	v_lshrrev_b32_e32 v132, 16, v61
	v_pk_fma_f16 v62, 0x2de839e9, v43, v130
	v_fmamk_f16 v19, v42, 0x3722, v56
	v_fmamk_f16 v20, v45, 0xb8d2, v47
	v_pk_add_f16 v55, v10, v5 neg_lo:[0,1] neg_hi:[0,1]
	v_pk_add_f16 v60, v2, v15
	v_lshrrev_b32_e32 v21, 16, v62
	v_add_f16_e32 v19, v19, v0
	v_mul_f16_e64 v72, 0x31e1, v132
	v_lshrrev_b32_e32 v131, 16, v55
	v_pk_add_f16 v53, v11, v4 neg_lo:[0,1] neg_hi:[0,1]
	v_pk_add_f16 v54, v5, v10
	v_add_f16_e32 v19, v20, v19
	v_lshrrev_b32_e32 v20, 16, v46
	v_mul_f16_e64 v71, 0x3bb2, v131
	v_lshrrev_b32_e32 v128, 16, v53
	v_pk_add_f16 v49, v12, v7 neg_lo:[0,1] neg_hi:[0,1]
	v_pk_add_f16 v50, v4, v11
	v_add_f16_e32 v20, v20, v0
	v_pk_add_f16 v48, v7, v12
	v_mul_f16_e64 v70, 0x3964, v128
	v_lshrrev_b32_e32 v126, 16, v49
	v_pk_mul_f16 v154, 0x3722b8d2, v60
	v_add_f16_e32 v20, v21, v20
	v_fmamk_f16 v21, v60, 0xbbdd, v72
	v_pk_mul_f16 v155, 0x2de8bbdd, v54
	v_mul_f16_e32 v69, 0xb5c8, v126
	v_pk_fma_f16 v63, 0xba62bb29, v61, v154 op_sel:[0,0,1] op_sel_hi:[1,1,0]
	v_pk_add_f16 v52, v13, v6 neg_lo:[0,1] neg_hi:[0,1]
	v_add_f16_e32 v19, v21, v19
	v_fmamk_f16 v21, v54, 0xb461, v71
	v_pk_fma_f16 v64, 0xb1e1bbf7, v55, v155 op_sel:[0,0,1] op_sel_hi:[1,1,0]
	v_pk_add_f16 v51, v6, v13
	v_lshrrev_b32_e32 v127, 16, v52
	v_pk_mul_f16 v156, 0xb461bacd, v50
	v_add_f16_e32 v19, v21, v19
	v_fmamk_f16 v21, v50, 0x39e9, v70
	v_pk_mul_f16 v157, 0xb8d2b461, v48
	v_mul_f16_e32 v73, 0xbbf7, v127
	v_pk_fma_f16 v65, 0x3836bbb2, v53, v156 op_sel:[0,0,1] op_sel_hi:[1,1,0]
	v_pk_mul_f16 v158, 0xbacd3722, v51
	v_add_f16_e32 v19, v21, v19
	v_fmamk_f16 v21, v48, 0x3b76, v69
	v_pk_fma_f16 v66, 0x3bb2ba62, v49, v157 op_sel:[0,0,1] op_sel_hi:[1,1,0]
	v_pk_add_f16 v58, v9, v8
	v_pk_fma_f16 v67, 0x3b29b836, v52, v158 op_sel:[0,0,1] op_sel_hi:[1,1,0]
	v_pk_add_f16 v59, v8, v9 neg_lo:[0,1] neg_hi:[0,1]
	v_add_f16_e32 v19, v21, v19
	v_lshrrev_b32_e32 v21, 16, v63
	v_pk_mul_f16 v159, 0xbbdd3b76, v58
	v_mul_f16_e64 v143, 0xbbf7, v124
	v_lshrrev_b32_e32 v129, 16, v59
	v_mul_f16_e32 v80, 0xb1e1, v125
	v_add_f16_e32 v20, v21, v20
	v_lshrrev_b32_e32 v21, 16, v64
	v_pk_fma_f16 v68, 0x35c8b1e1, v59, v159 op_sel:[0,0,1] op_sel_hi:[1,1,0]
	v_mul_f16_e64 v74, 0xb836, v129
	v_fmamk_f16 v22, v45, 0xbbdd, v80
	v_mul_f16_e64 v145, 0xbbb2, v124
	v_add_f16_e32 v20, v21, v20
	v_fmamk_f16 v21, v51, 0x2de8, v73
	v_mul_f16_e64 v134, 0x3836, v125
	v_mul_f16_e64 v81, 0x3bb2, v132
	;; [unrolled: 1-line block ×4, first 2 shown]
	v_add_f16_e32 v19, v21, v19
	v_lshrrev_b32_e32 v21, 16, v65
	v_fma_f16 v23, 0xbacd, v45, v134
	v_mul_f16_e64 v86, 0xbb29, v131
	v_mul_f16_e64 v78, 0xbb29, v128
	;; [unrolled: 1-line block ×3, first 2 shown]
	v_add_f16_e32 v20, v21, v20
	v_lshrrev_b32_e32 v21, 16, v66
	v_mul_f16_e32 v77, 0xb836, v126
	v_mul_f16_e32 v84, 0x3bf7, v126
	v_mul_f16_e32 v76, 0x3a62, v127
	v_mul_f16_e32 v83, 0xb5c8, v127
	v_add_f16_e32 v20, v21, v20
	v_lshrrev_b32_e32 v21, 16, v67
	v_mul_f16_e64 v75, 0x3964, v129
	v_mul_f16_e64 v82, 0xba62, v129
	;; [unrolled: 1-line block ×4, first 2 shown]
	v_add_f16_e32 v20, v21, v20
	v_lshrrev_b32_e32 v21, 16, v68
	v_mul_f16_e64 v153, 0xb836, v124
	v_mul_f16_e64 v149, 0x3b29, v125
	v_fma_f16 v24, 0xb461, v45, v141
	v_mul_f16_e64 v142, 0xb5c8, v132
	v_add_f16_e32 v20, v21, v20
	v_fmamk_f16 v21, v58, 0xbacd, v74
	v_fma_f16 v136, 0x3722, v45, v149
	v_mul_f16_e64 v150, 0xbbf7, v132
	v_mul_f16_e64 v139, 0xb836, v131
	;; [unrolled: 1-line block ×3, first 2 shown]
	v_add_f16_e32 v19, v21, v19
	v_fma_f16 v21, 0x2de8, v42, v143
	v_mul_f16_e64 v140, 0x3bf7, v128
	v_mul_f16_e64 v148, 0xb5c8, v128
	;; [unrolled: 1-line block ×4, first 2 shown]
	v_add_f16_e32 v21, v21, v0
	v_mul_f16_e64 v137, 0xb1e1, v127
	v_mul_f16_e64 v146, 0x3964, v127
	;; [unrolled: 1-line block ×3, first 2 shown]
	v_pk_add_f16 v165, v39, v38 neg_lo:[0,1] neg_hi:[0,1]
	v_add_f16_e32 v21, v22, v21
	v_fma_f16 v22, 0xb461, v42, v145
	v_pk_add_f16 v186, v40, v37 neg_lo:[0,1] neg_hi:[0,1]
	v_pk_add_f16 v221, v26, v133 neg_lo:[0,1] neg_hi:[0,1]
	;; [unrolled: 1-line block ×4, first 2 shown]
	v_add_f16_e32 v22, v22, v0
	v_pk_add_f16 v201, v29, v32 neg_lo:[0,1] neg_hi:[0,1]
	v_lshrrev_b32_e32 v164, 16, v221
	v_pk_add_f16 v166, v133, v26
	v_pk_add_f16 v199, v30, v31 neg_lo:[0,1] neg_hi:[0,1]
	v_add_f16_e32 v22, v23, v22
	v_fmamk_f16 v23, v60, 0xb461, v81
	v_mul_f16_e64 v167, 0xb836, v164
	v_lshrrev_b32_e32 v228, 16, v201
	v_mul_f16_e64 v183, 0xb836, v221
	v_mul_f16_e64 v185, 0x3b29, v201
	v_add_f16_e32 v21, v23, v21
	v_fmamk_f16 v23, v60, 0x39e9, v87
	v_mul_f16_e64 v182, 0x3b29, v228
	v_lshrrev_b32_e32 v226, 16, v199
	v_mul_f16_e64 v181, 0xbbf7, v199
	v_lshrrev_b32_e32 v223, 16, v195
	v_add_f16_e32 v22, v23, v22
	v_fmamk_f16 v23, v54, 0x3b76, v79
	v_mul_f16_e64 v178, 0xbbf7, v226
	v_mul_f16_e64 v177, 0x3a62, v195
	;; [unrolled: 1-line block ×3, first 2 shown]
	v_lshrrev_b32_e32 v220, 16, v192
	v_add_f16_e32 v21, v23, v21
	v_fmamk_f16 v23, v54, 0x3722, v86
	v_mul_f16_e64 v175, 0xb5c8, v192
	v_lshrrev_b32_e32 v219, 16, v165
	v_mul_f16_e64 v174, 0xb5c8, v220
	v_mul_f16_e64 v171, 0xb1e1, v165
	v_add_f16_e32 v22, v23, v22
	v_fmamk_f16 v23, v50, 0x3722, v78
	v_mul_f16_e64 v169, 0xb1e1, v219
	v_lshrrev_b32_e32 v217, 16, v186
	v_mul_f16_e64 v194, 0x3964, v186
	global_wb scope:SCOPE_SE
	v_add_f16_e32 v21, v23, v21
	v_fmamk_f16 v23, v50, 0xbbdd, v85
	v_mul_f16_e64 v191, 0x3964, v217
	s_wait_kmcnt 0x0
	s_barrier_signal -1
	s_barrier_wait -1
	global_inv scope:SCOPE_SE
	v_add_f16_e32 v22, v23, v22
	v_fmamk_f16 v23, v48, 0xbacd, v77
	v_mul_f16_e64 v173, 0xbb29, v164
	v_mul_f16_e64 v196, 0xba62, v199
	;; [unrolled: 1-line block ×4, first 2 shown]
	v_add_f16_e32 v21, v23, v21
	v_fmamk_f16 v23, v48, 0x2de8, v84
	v_fma_f16 v179, v166, 0x3722, -v173
	v_fmac_f16_e64 v173, 0x3722, v166
	v_mul_f16_e64 v208, 0x3bb2, v165
	v_mul_f16_e64 v211, 0x3b29, v186
	v_add_f16_e32 v22, v23, v22
	v_fmamk_f16 v23, v51, 0xb8d2, v76
	v_add_f16_e64 v222, v25, v179
	v_mul_f16_e64 v179, 0xbbb2, v164
	v_mul_f16_e64 v225, 0xbb29, v221
	;; [unrolled: 1-line block ×3, first 2 shown]
	v_add_f16_e32 v21, v23, v21
	v_fmamk_f16 v23, v51, 0x3b76, v83
	v_fma_f16 v187, v166, 0xb461, -v179
	v_fmac_f16_e64 v179, 0xb461, v166
	v_mul_f16_e64 v250, 0xbbf7, v221
	v_mul_f16_e64 v251, 0xb1e1, v201
	v_add_f16_e32 v23, v23, v22
	v_fmamk_f16 v22, v58, 0x39e9, v75
	v_add_f16_e64 v242, v25, v187
	v_add_f16_e64 v215, v25, v179
	v_mul_f16_e64 v187, 0xbbf7, v201
	v_mul_f16_e64 v252, 0x3bb2, v226
	v_add_f16_e32 v22, v22, v21
	v_fmamk_f16 v21, v58, 0xb8d2, v82
	v_mul_f16_e64 v253, 0x3bb2, v199
	v_mul_f16_e64 v254, 0x35c8, v223
	;; [unrolled: 1-line block ×4, first 2 shown]
	v_add_f16_e32 v21, v21, v23
	v_fma_f16 v23, 0xb8d2, v42, v152
	v_mul_f16_e64 v92, 0xbb29, v192
	v_mul_f16_e64 v96, 0xb836, v219
	;; [unrolled: 1-line block ×4, first 2 shown]
	v_add_f16_e32 v23, v23, v0
	s_delay_alu instid0(VALU_DEP_1) | instskip(SKIP_1) | instid1(VALU_DEP_1)
	v_add_f16_e32 v23, v24, v23
	v_fma_f16 v24, 0xbacd, v42, v153
	v_add_f16_e32 v24, v24, v0
	s_delay_alu instid0(VALU_DEP_1) | instskip(SKIP_1) | instid1(VALU_DEP_1)
	v_add_f16_e64 v24, v136, v24
	v_fma_f16 v136, 0x3b76, v60, v142
	v_add_f16_e64 v23, v136, v23
	v_fma_f16 v136, 0x2de8, v60, v150
	s_delay_alu instid0(VALU_DEP_1) | instskip(SKIP_1) | instid1(VALU_DEP_1)
	v_add_f16_e64 v24, v136, v24
	v_fma_f16 v136, 0xbacd, v54, v139
	v_add_f16_e64 v23, v136, v23
	v_fma_f16 v136, 0xb8d2, v54, v151
	;; [unrolled: 5-line block ×5, first 2 shown]
	s_delay_alu instid0(VALU_DEP_1) | instskip(SKIP_1) | instid1(VALU_DEP_1)
	v_add_f16_e64 v160, v136, v24
	v_mul_f16_e64 v136, 0x3b29, v129
	v_fma_f16 v24, 0x3722, v58, v136
	s_delay_alu instid0(VALU_DEP_1) | instskip(SKIP_1) | instid1(VALU_DEP_1)
	v_add_f16_e32 v24, v24, v23
	v_fma_f16 v23, 0xb461, v58, v144
	v_add_f16_e64 v23, v23, v160
	v_pk_add_f16 v160, v25, v26
	v_fma_f16 v26, v166, 0xbacd, -v167
	v_fmac_f16_e64 v167, 0xbacd, v166
	s_delay_alu instid0(VALU_DEP_3) | instskip(NEXT) | instid1(VALU_DEP_3)
	v_pk_add_f16 v160, v160, v29
	v_add_f16_e32 v26, v25, v26
	s_delay_alu instid0(VALU_DEP_3) | instskip(NEXT) | instid1(VALU_DEP_3)
	v_add_f16_e64 v240, v25, v167
	v_pk_add_f16 v160, v160, v30
	s_delay_alu instid0(VALU_DEP_1) | instskip(NEXT) | instid1(VALU_DEP_1)
	v_pk_add_f16 v160, v160, v33
	v_pk_add_f16 v160, v160, v34
	s_delay_alu instid0(VALU_DEP_1) | instskip(NEXT) | instid1(VALU_DEP_1)
	v_pk_add_f16 v160, v160, v39
	v_pk_add_f16 v161, v160, v40
	;; [unrolled: 1-line block ×4, first 2 shown]
	s_delay_alu instid0(VALU_DEP_3) | instskip(NEXT) | instid1(VALU_DEP_3)
	v_pk_add_f16 v40, v161, v27
	v_pk_mul_f16 v206, 0xb8d2b461, v160
	s_delay_alu instid0(VALU_DEP_2) | instskip(NEXT) | instid1(VALU_DEP_2)
	v_pk_add_f16 v40, v40, v28
	v_pk_fma_f16 v207, 0x3bb2ba62, v165, v206 op_sel:[0,0,1] op_sel_hi:[1,1,0]
	s_delay_alu instid0(VALU_DEP_2) | instskip(NEXT) | instid1(VALU_DEP_1)
	v_pk_add_f16 v37, v40, v37
	v_pk_add_f16 v38, v37, v38
	;; [unrolled: 1-line block ×4, first 2 shown]
	s_delay_alu instid0(VALU_DEP_3) | instskip(NEXT) | instid1(VALU_DEP_2)
	v_pk_add_f16 v34, v38, v35
	v_pk_mul_f16 v198, 0xb461bacd, v33
	s_delay_alu instid0(VALU_DEP_2) | instskip(SKIP_2) | instid1(VALU_DEP_4)
	v_pk_add_f16 v35, v34, v36
	v_pk_add_f16 v34, v32, v29
	;; [unrolled: 1-line block ×3, first 2 shown]
	v_pk_fma_f16 v203, 0x3836bbb2, v192, v198 op_sel:[0,0,1] op_sel_hi:[1,1,0]
	s_delay_alu instid0(VALU_DEP_4) | instskip(NEXT) | instid1(VALU_DEP_1)
	v_pk_add_f16 v30, v35, v31
	v_pk_add_f16 v162, v30, v32
	v_fma_f16 v30, v34, 0x3722, -v182
	v_fmac_f16_e64 v182, 0x3722, v34
	s_delay_alu instid0(VALU_DEP_3) | instskip(NEXT) | instid1(VALU_DEP_3)
	v_pk_add_f16 v162, v162, v133
	v_add_f16_e32 v32, v30, v26
	v_lshrrev_b32_e32 v30, 16, v166
	v_lshrrev_b32_e32 v26, 16, v25
	v_mul_lo_u16 v133, v115, 17
	s_delay_alu instid0(VALU_DEP_3) | instskip(NEXT) | instid1(VALU_DEP_2)
	v_fma_f16 v31, 0xbacd, v30, v183
	v_and_b32_e32 v133, 0xffff, v133
	s_delay_alu instid0(VALU_DEP_2) | instskip(SKIP_1) | instid1(VALU_DEP_3)
	v_add_f16_e32 v35, v26, v31
	v_lshrrev_b32_e32 v31, 16, v34
	v_lshlrev_b32_e32 v133, 2, v133
	s_delay_alu instid0(VALU_DEP_2) | instskip(SKIP_1) | instid1(VALU_DEP_2)
	v_fma_f16 v36, 0x3722, v31, v185
	v_fma_f16 v231, 0xbbdd, v31, v251
	v_add_f16_e32 v35, v36, v35
	v_fma_f16 v36, v29, 0x2de8, -v178
	v_fmac_f16_e64 v178, 0x2de8, v29
	s_delay_alu instid0(VALU_DEP_2) | instskip(SKIP_1) | instid1(VALU_DEP_1)
	v_add_f16_e32 v36, v36, v32
	v_lshrrev_b32_e32 v32, 16, v29
	v_fma_f16 v38, 0x2de8, v32, v181
	s_delay_alu instid0(VALU_DEP_1) | instskip(SKIP_2) | instid1(VALU_DEP_2)
	v_add_f16_e32 v38, v38, v35
	v_fma_f16 v35, v37, 0xb8d2, -v176
	v_fmac_f16_e64 v176, 0xb8d2, v37
	v_add_f16_e32 v36, v35, v36
	v_lshrrev_b32_e32 v35, 16, v37
	s_delay_alu instid0(VALU_DEP_1) | instskip(NEXT) | instid1(VALU_DEP_1)
	v_fma_f16 v40, 0xb8d2, v35, v177
	v_add_f16_e32 v38, v40, v38
	v_fma_f16 v40, v33, 0x3b76, -v174
	v_fmac_f16_e64 v174, 0x3b76, v33
	s_delay_alu instid0(VALU_DEP_2) | instskip(SKIP_1) | instid1(VALU_DEP_1)
	v_add_f16_e32 v40, v40, v36
	v_lshrrev_b32_e32 v36, 16, v33
	v_fma_f16 v161, 0x3b76, v36, v175
	s_delay_alu instid0(VALU_DEP_1) | instskip(SKIP_2) | instid1(VALU_DEP_2)
	v_add_f16_e64 v161, v161, v38
	v_fma_f16 v38, v160, 0xbbdd, -v169
	v_fmac_f16_e64 v169, 0xbbdd, v160
	v_add_f16_e32 v40, v38, v40
	v_lshrrev_b32_e32 v38, 16, v160
	s_delay_alu instid0(VALU_DEP_1) | instskip(NEXT) | instid1(VALU_DEP_1)
	v_fma_f16 v163, 0xbbdd, v38, v171
	v_add_f16_e64 v161, v163, v161
	v_fma_f16 v163, v39, 0x39e9, -v191
	v_fmac_f16_e64 v191, 0x39e9, v39
	s_delay_alu instid0(VALU_DEP_2) | instskip(SKIP_1) | instid1(VALU_DEP_1)
	v_add_f16_e64 v163, v163, v40
	v_lshrrev_b32_e32 v40, 16, v39
	v_fma_f16 v168, 0x39e9, v40, v194
	s_delay_alu instid0(VALU_DEP_1) | instskip(SKIP_2) | instid1(VALU_DEP_2)
	v_add_f16_e64 v168, v168, v161
	v_pk_add_f16 v161, v27, v28 neg_lo:[0,1] neg_hi:[0,1]
	v_pk_add_f16 v27, v28, v27
	v_lshrrev_b32_e32 v239, 16, v161
	v_mul_f16_e64 v212, 0xbbb2, v161
	s_delay_alu instid0(VALU_DEP_3) | instskip(NEXT) | instid1(VALU_DEP_3)
	v_pk_mul_f16 v214, 0xbbdd3b76, v27
	v_mul_f16_e64 v210, 0xbbb2, v239
	s_delay_alu instid0(VALU_DEP_1) | instskip(SKIP_1) | instid1(VALU_DEP_2)
	v_fma_f16 v28, v27, 0xb461, -v210
	v_fmac_f16_e64 v210, 0xb461, v27
	v_add_f16_e64 v163, v28, v163
	v_lshrrev_b32_e32 v28, 16, v27
	s_delay_alu instid0(VALU_DEP_1) | instskip(NEXT) | instid1(VALU_DEP_1)
	v_fma_f16 v170, 0xb461, v28, v212
	v_add_f16_e64 v168, v170, v168
	s_delay_alu instid0(VALU_DEP_1) | instskip(SKIP_3) | instid1(VALU_DEP_1)
	v_pack_b32_f16 v163, v163, v168
	v_pk_mul_f16 v168, 0x3b7639e9, v166
	ds_store_2addr_b32 v133, v162, v163 offset1:7
	v_mul_f16_e64 v162, 0xb5c8, v164
	v_fma_f16 v163, v166, 0x3b76, -v162
	v_fmac_f16_e64 v162, 0x3b76, v166
	s_delay_alu instid0(VALU_DEP_2) | instskip(SKIP_2) | instid1(VALU_DEP_4)
	v_add_f16_e64 v172, v25, v163
	v_pk_fma_f16 v163, 0xb964b5c8, v221, v168 op_sel:[0,0,1] op_sel_hi:[1,1,0] neg_lo:[0,1,0] neg_hi:[0,1,0]
	v_pk_fma_f16 v168, 0xb964b5c8, v221, v168 op_sel:[0,0,1] op_sel_hi:[1,1,0]
	v_add_f16_e64 v162, v25, v162
	s_delay_alu instid0(VALU_DEP_2) | instskip(NEXT) | instid1(VALU_DEP_1)
	v_bfi_b32 v170, 0xffff, v168, v163
	v_pk_add_f16 v180, v25, v170 op_sel:[1,0] op_sel_hi:[0,1]
	v_pk_add_f16 v170, v25, v168 op_sel:[1,0] op_sel_hi:[0,1]
	v_add_f16_e64 v168, v25, v173
	v_mul_f16_e64 v173, 0xbbf7, v164
	v_mul_f16_e64 v164, 0xba62, v164
	s_delay_alu instid0(VALU_DEP_2) | instskip(SKIP_1) | instid1(VALU_DEP_3)
	v_fma_f16 v184, v166, 0x2de8, -v173
	v_fmac_f16_e64 v173, 0x2de8, v166
	v_fma_f16 v188, v166, 0xb8d2, -v164
	v_fmac_f16_e64 v164, 0xb8d2, v166
	v_pk_mul_f16 v166, 0xbbdd, v166 op_sel_hi:[0,1]
	v_add_f16_e64 v227, v25, v184
	v_add_f16_e64 v216, v25, v173
	;; [unrolled: 1-line block ×4, first 2 shown]
	v_pk_fma_f16 v173, 0xb1e1, v221, v166 op_sel:[0,0,1] op_sel_hi:[0,1,0] neg_lo:[0,1,0] neg_hi:[0,1,0]
	v_pk_fma_f16 v166, 0xb1e1, v221, v166 op_sel:[0,0,1] op_sel_hi:[0,1,0]
	v_mul_f16_e64 v164, 0xb964, v228
	v_mul_f16_e64 v188, 0xb964, v221
	s_delay_alu instid0(VALU_DEP_4) | instskip(NEXT) | instid1(VALU_DEP_4)
	v_pk_add_f16 v244, v25, v173 op_sel:[1,0] op_sel_hi:[0,1]
	v_pk_add_f16 v245, v25, v166 op_sel:[1,0] op_sel_hi:[0,1]
	s_delay_alu instid0(VALU_DEP_4) | instskip(SKIP_3) | instid1(VALU_DEP_4)
	v_fma_f16 v25, v34, 0x39e9, -v164
	v_pk_mul_f16 v166, 0x39e92de8, v34
	v_fma_f16 v173, 0x2de8, v31, v187
	v_fmac_f16_e64 v164, 0x39e9, v34
	v_add_f16_e64 v167, v25, v172
	s_delay_alu instid0(VALU_DEP_4) | instskip(SKIP_1) | instid1(VALU_DEP_1)
	v_pk_fma_f16 v25, 0xbbf7b964, v201, v166 op_sel:[0,0,1] op_sel_hi:[1,1,0] neg_lo:[0,1,0] neg_hi:[0,1,0]
	v_pk_fma_f16 v184, 0xbbf7b964, v201, v166 op_sel:[0,0,1] op_sel_hi:[1,1,0]
	v_bfi_b32 v166, 0xffff, v184, v25
	s_delay_alu instid0(VALU_DEP_1) | instskip(SKIP_2) | instid1(VALU_DEP_2)
	v_pk_add_f16 v172, v166, v180
	v_fma_f16 v166, 0x39e9, v30, v188
	v_pk_mul_f16 v180, 0x3722b8d2, v29
	v_add_f16_e64 v166, v26, v166
	s_delay_alu instid0(VALU_DEP_2) | instskip(NEXT) | instid1(VALU_DEP_2)
	v_pk_fma_f16 v193, 0xba62bb29, v199, v180 op_sel:[0,0,1] op_sel_hi:[1,1,0]
	v_add_f16_e64 v173, v173, v166
	v_mul_f16_e64 v166, 0xbb29, v226
	s_delay_alu instid0(VALU_DEP_1) | instskip(SKIP_1) | instid1(VALU_DEP_2)
	v_fma_f16 v179, v29, 0x3722, -v166
	v_fmac_f16_e64 v166, 0x3722, v29
	v_add_f16_e64 v179, v179, v167
	v_pk_fma_f16 v167, 0xba62bb29, v199, v180 op_sel:[0,0,1] op_sel_hi:[1,1,0] neg_lo:[0,1,0] neg_hi:[0,1,0]
	s_delay_alu instid0(VALU_DEP_1) | instskip(NEXT) | instid1(VALU_DEP_1)
	v_bfi_b32 v180, 0xffff, v193, v167
	v_pk_add_f16 v180, v180, v172
	v_fma_f16 v172, 0xb8d2, v32, v196
	s_delay_alu instid0(VALU_DEP_1) | instskip(SKIP_1) | instid1(VALU_DEP_1)
	v_add_f16_e64 v189, v172, v173
	v_mul_f16_e64 v172, 0xbbf7, v223
	v_fma_f16 v173, v37, 0x2de8, -v172
	v_fmac_f16_e64 v172, 0x2de8, v37
	s_delay_alu instid0(VALU_DEP_2) | instskip(SKIP_1) | instid1(VALU_DEP_1)
	v_add_f16_e64 v190, v173, v179
	v_pk_mul_f16 v179, 0x2de8bbdd, v37
	v_pk_fma_f16 v173, 0xb1e1bbf7, v195, v179 op_sel:[0,0,1] op_sel_hi:[1,1,0] neg_lo:[0,1,0] neg_hi:[0,1,0]
	v_pk_fma_f16 v200, 0xb1e1bbf7, v195, v179 op_sel:[0,0,1] op_sel_hi:[1,1,0]
	s_delay_alu instid0(VALU_DEP_1) | instskip(NEXT) | instid1(VALU_DEP_1)
	v_bfi_b32 v179, 0xffff, v200, v173
	v_pk_add_f16 v197, v179, v180
	v_fma_f16 v179, 0xbbdd, v35, v202
	s_delay_alu instid0(VALU_DEP_1) | instskip(SKIP_1) | instid1(VALU_DEP_1)
	v_add_f16_e64 v189, v179, v189
	v_mul_f16_e64 v179, 0xbbb2, v220
	v_fma_f16 v180, v33, 0xb461, -v179
	v_fmac_f16_e64 v179, 0xb461, v33
	s_delay_alu instid0(VALU_DEP_2) | instskip(SKIP_1) | instid1(VALU_DEP_1)
	v_add_f16_e64 v190, v180, v190
	v_pk_fma_f16 v180, 0x3836bbb2, v192, v198 op_sel:[0,0,1] op_sel_hi:[1,1,0] neg_lo:[0,1,0] neg_hi:[0,1,0]
	v_bfi_b32 v198, 0xffff, v203, v180
	s_delay_alu instid0(VALU_DEP_1) | instskip(SKIP_1) | instid1(VALU_DEP_1)
	v_pk_add_f16 v197, v198, v197
	v_fma_f16 v198, 0xbacd, v36, v205
	v_add_f16_e64 v198, v198, v189
	v_mul_f16_e64 v189, 0xba62, v219
	s_delay_alu instid0(VALU_DEP_1) | instskip(SKIP_1) | instid1(VALU_DEP_2)
	v_fma_f16 v204, v160, 0xb8d2, -v189
	v_fmac_f16_e64 v189, 0xb8d2, v160
	v_add_f16_e64 v204, v204, v190
	v_pk_fma_f16 v190, 0x3bb2ba62, v165, v206 op_sel:[0,0,1] op_sel_hi:[1,1,0] neg_lo:[0,1,0] neg_hi:[0,1,0]
	s_delay_alu instid0(VALU_DEP_1) | instskip(NEXT) | instid1(VALU_DEP_1)
	v_bfi_b32 v206, 0xffff, v207, v190
	v_pk_add_f16 v206, v206, v197
	v_fma_f16 v197, 0xb461, v38, v208
	s_delay_alu instid0(VALU_DEP_1) | instskip(SKIP_1) | instid1(VALU_DEP_1)
	v_add_f16_e64 v213, v197, v198
	v_mul_f16_e64 v197, 0xb836, v217
	v_fma_f16 v198, v39, 0xbacd, -v197
	v_fmac_f16_e64 v197, 0xbacd, v39
	s_delay_alu instid0(VALU_DEP_2) | instskip(SKIP_1) | instid1(VALU_DEP_1)
	v_add_f16_e64 v218, v198, v204
	v_pk_mul_f16 v204, 0xbacd3722, v39
	v_pk_fma_f16 v198, 0x3b29b836, v186, v204 op_sel:[0,0,1] op_sel_hi:[1,1,0] neg_lo:[0,1,0] neg_hi:[0,1,0]
	v_pk_fma_f16 v209, 0x3b29b836, v186, v204 op_sel:[0,0,1] op_sel_hi:[1,1,0]
	s_delay_alu instid0(VALU_DEP_1) | instskip(NEXT) | instid1(VALU_DEP_1)
	v_bfi_b32 v204, 0xffff, v209, v198
	v_pk_add_f16 v206, v204, v206
	v_fma_f16 v204, 0x3722, v40, v211
	s_delay_alu instid0(VALU_DEP_1) | instskip(SKIP_2) | instid1(VALU_DEP_1)
	v_add_f16_e64 v224, v204, v213
	v_pk_fma_f16 v204, 0x35c8b1e1, v161, v214 op_sel:[0,0,1] op_sel_hi:[1,1,0] neg_lo:[0,1,0] neg_hi:[0,1,0]
	v_pk_fma_f16 v213, 0x35c8b1e1, v161, v214 op_sel:[0,0,1] op_sel_hi:[1,1,0]
	v_bfi_b32 v213, 0xffff, v213, v204
	s_delay_alu instid0(VALU_DEP_1) | instskip(SKIP_1) | instid1(VALU_DEP_1)
	v_pk_add_f16 v246, v213, v206
	v_mul_f16_e64 v213, 0x35c8, v161
	v_fma_f16 v206, 0x3b76, v28, v213
	s_delay_alu instid0(VALU_DEP_1) | instskip(SKIP_1) | instid1(VALU_DEP_1)
	v_add_f16_e64 v247, v206, v224
	v_mul_f16_e64 v206, 0xb1e1, v239
	v_fma_f16 v224, v27, 0xbbdd, -v206
	v_fmac_f16_e64 v206, 0xbbdd, v27
	s_delay_alu instid0(VALU_DEP_2) | instskip(SKIP_1) | instid1(VALU_DEP_1)
	v_add_f16_e64 v248, v224, v218
	v_mul_f16_e64 v218, 0xba62, v228
	v_fma_f16 v224, v34, 0xb8d2, -v218
	v_fmac_f16_e64 v218, 0xb8d2, v34
	s_delay_alu instid0(VALU_DEP_2) | instskip(SKIP_2) | instid1(VALU_DEP_2)
	v_add_f16_e64 v229, v224, v222
	v_fma_f16 v222, 0x3722, v30, v225
	v_mul_f16_e64 v224, 0xba62, v201
	v_add_f16_e64 v222, v26, v222
	s_delay_alu instid0(VALU_DEP_2) | instskip(NEXT) | instid1(VALU_DEP_1)
	v_fma_f16 v230, 0xb8d2, v31, v224
	v_add_f16_e64 v230, v230, v222
	v_fma_f16 v222, v34, 0xbbdd, -v249
	v_fmac_f16_e64 v249, 0xbbdd, v34
	s_delay_alu instid0(VALU_DEP_2) | instskip(SKIP_1) | instid1(VALU_DEP_1)
	v_add_f16_e64 v227, v222, v227
	v_fma_f16 v222, 0x2de8, v30, v250
	v_add_f16_e64 v222, v26, v222
	s_delay_alu instid0(VALU_DEP_1) | instskip(SKIP_1) | instid1(VALU_DEP_1)
	v_add_f16_e64 v232, v231, v222
	v_mul_f16_e64 v222, 0x31e1, v226
	v_fma_f16 v231, v29, 0xbbdd, -v222
	v_fmac_f16_e64 v222, 0xbbdd, v29
	s_delay_alu instid0(VALU_DEP_2) | instskip(SKIP_1) | instid1(VALU_DEP_1)
	v_add_f16_e64 v229, v231, v229
	v_mul_f16_e64 v231, 0x31e1, v199
	v_fma_f16 v233, 0xbbdd, v32, v231
	s_delay_alu instid0(VALU_DEP_1) | instskip(SKIP_2) | instid1(VALU_DEP_2)
	v_add_f16_e64 v230, v233, v230
	v_fma_f16 v233, v29, 0xb461, -v252
	v_fmac_f16_e64 v252, 0xb461, v29
	v_add_f16_e64 v234, v233, v227
	v_fma_f16 v227, 0xb461, v32, v253
	s_delay_alu instid0(VALU_DEP_1) | instskip(SKIP_1) | instid1(VALU_DEP_1)
	v_add_f16_e64 v232, v227, v232
	v_mul_f16_e64 v227, 0x3bb2, v223
	v_fma_f16 v233, v37, 0xb461, -v227
	v_fmac_f16_e64 v227, 0xb461, v37
	s_delay_alu instid0(VALU_DEP_2) | instskip(SKIP_1) | instid1(VALU_DEP_1)
	v_add_f16_e64 v229, v233, v229
	v_mul_f16_e64 v233, 0x3bb2, v195
	v_fma_f16 v235, 0xb461, v35, v233
	s_delay_alu instid0(VALU_DEP_1) | instskip(SKIP_2) | instid1(VALU_DEP_2)
	v_add_f16_e64 v235, v235, v230
	v_fma_f16 v230, v37, 0x3b76, -v254
	v_fmac_f16_e64 v254, 0x3b76, v37
	v_add_f16_e64 v236, v230, v234
	v_fma_f16 v230, 0x3b76, v35, v255
	s_delay_alu instid0(VALU_DEP_1) | instskip(SKIP_1) | instid1(VALU_DEP_1)
	v_add_f16_e64 v232, v230, v232
	v_mul_f16_e64 v230, 0x3964, v220
	v_fma_f16 v234, v33, 0x39e9, -v230
	v_fmac_f16_e64 v230, 0x39e9, v33
	s_delay_alu instid0(VALU_DEP_2) | instskip(SKIP_1) | instid1(VALU_DEP_1)
	v_add_f16_e64 v237, v234, v229
	v_mul_f16_e64 v234, 0x3964, v192
	v_fma_f16 v229, 0x39e9, v36, v234
	s_delay_alu instid0(VALU_DEP_1) | instskip(SKIP_2) | instid1(VALU_DEP_2)
	v_add_f16_e64 v235, v229, v235
	v_fma_f16 v229, v33, 0x3722, -v91
	v_fmac_f16_e32 v91, 0x3722, v33
	v_add_f16_e64 v238, v229, v236
	v_fma_f16 v229, 0x3722, v36, v92
	s_delay_alu instid0(VALU_DEP_1) | instskip(SKIP_1) | instid1(VALU_DEP_1)
	v_add_f16_e64 v232, v229, v232
	v_mul_f16_e64 v229, 0xb5c8, v219
	v_fma_f16 v236, v160, 0x3b76, -v229
	v_fmac_f16_e64 v229, 0x3b76, v160
	s_delay_alu instid0(VALU_DEP_2) | instskip(SKIP_1) | instid1(VALU_DEP_1)
	v_add_f16_e64 v237, v236, v237
	v_mul_f16_e64 v236, 0xb5c8, v165
	v_fma_f16 v94, 0x3b76, v38, v236
	s_delay_alu instid0(VALU_DEP_1) | instskip(SKIP_2) | instid1(VALU_DEP_2)
	v_add_f16_e64 v94, v94, v235
	v_fma_f16 v235, v160, 0xbacd, -v96
	v_fmac_f16_e64 v96, 0xbacd, v160
	v_add_f16_e64 v235, v235, v238
	v_fma_f16 v238, 0xbacd, v38, v98
	s_delay_alu instid0(VALU_DEP_1) | instskip(SKIP_1) | instid1(VALU_DEP_1)
	v_add_f16_e64 v238, v238, v232
	v_mul_f16_e64 v232, 0xbbf7, v217
	v_fma_f16 v101, v39, 0x2de8, -v232
	v_fmac_f16_e64 v232, 0x2de8, v39
	s_delay_alu instid0(VALU_DEP_2) | instskip(SKIP_1) | instid1(VALU_DEP_1)
	v_add_f16_e64 v101, v101, v237
	v_mul_f16_e64 v237, 0xbbf7, v186
	v_fma_f16 v103, 0x2de8, v40, v237
	s_delay_alu instid0(VALU_DEP_1) | instskip(SKIP_1) | instid1(VALU_DEP_1)
	v_add_f16_e32 v94, v103, v94
	v_mul_f16_e64 v103, 0x3a62, v217
	v_fma_f16 v105, v39, 0xb8d2, -v103
	v_fmac_f16_e32 v103, 0xb8d2, v39
	s_delay_alu instid0(VALU_DEP_2) | instskip(SKIP_1) | instid1(VALU_DEP_1)
	v_add_f16_e64 v105, v105, v235
	v_fma_f16 v235, 0xb8d2, v40, v107
	v_add_f16_e64 v238, v235, v238
	v_mul_f16_e64 v235, 0xb836, v239
	s_delay_alu instid0(VALU_DEP_1) | instskip(SKIP_1) | instid1(VALU_DEP_2)
	v_fma_f16 v109, v27, 0xbacd, -v235
	v_fmac_f16_e64 v235, 0xbacd, v27
	v_add_f16_e32 v101, v109, v101
	v_mul_f16_e64 v109, 0x3964, v239
	s_delay_alu instid0(VALU_DEP_1) | instskip(SKIP_1) | instid1(VALU_DEP_2)
	v_fma_f16 v111, v27, 0x39e9, -v109
	v_fmac_f16_e32 v109, 0x39e9, v27
	v_add_f16_e32 v105, v111, v105
	v_mul_f16_e64 v111, 0x3964, v161
	s_delay_alu instid0(VALU_DEP_1) | instskip(NEXT) | instid1(VALU_DEP_1)
	v_fmamk_f16 v113, v28, 0x39e9, v111
	v_add_f16_e64 v113, v113, v238
	v_mul_f16_e64 v238, 0xbacd, v28
	s_delay_alu instid0(VALU_DEP_2) | instskip(NEXT) | instid1(VALU_DEP_2)
	v_pack_b32_f16 v105, v105, v113
	v_fma_f16 v116, 0xb836, v161, v238
	s_delay_alu instid0(VALU_DEP_1) | instskip(SKIP_3) | instid1(VALU_DEP_4)
	v_add_f16_e32 v94, v116, v94
	v_alignbit_b32 v116, v247, v246, 16
	v_pack_b32_f16 v246, v248, v246
	v_mul_f16_e64 v248, 0x3bb2, v201
	v_pack_b32_f16 v94, v101, v94
	v_mul_f16_e64 v101, 0x3836, v228
	ds_store_2addr_b32 v133, v246, v116 offset0:1 offset1:2
	v_mul_f16_e64 v116, 0xbbb2, v221
	v_mul_f16_e64 v246, 0x3836, v201
	ds_store_2addr_b32 v133, v94, v105 offset0:3 offset1:4
	v_fma_f16 v113, v34, 0xbacd, -v101
	v_mul_f16_e64 v228, 0x3bb2, v228
	v_mul_f16_e64 v221, 0xba62, v221
	v_fma_f16 v247, 0xbacd, v31, v246
	v_fma_f16 v118, 0xb461, v31, v248
	v_add_f16_e64 v113, v113, v242
	v_fma_f16 v242, 0xb461, v30, v116
	v_pk_mul_f16 v94, 0xbacd, v29 op_sel_hi:[0,1]
	v_fmac_f16_e32 v101, 0xbacd, v34
	s_delay_alu instid0(VALU_DEP_3) | instskip(NEXT) | instid1(VALU_DEP_3)
	v_add_f16_e64 v242, v26, v242
	v_pk_fma_f16 v105, 0xb836, v199, v94 op_sel:[0,0,1] op_sel_hi:[0,1,0] neg_lo:[0,1,0] neg_hi:[0,1,0]
	v_pk_fma_f16 v94, 0xb836, v199, v94 op_sel:[0,0,1] op_sel_hi:[0,1,0]
	s_delay_alu instid0(VALU_DEP_3) | instskip(SKIP_2) | instid1(VALU_DEP_2)
	v_add_f16_e64 v242, v247, v242
	v_fma_f16 v247, v34, 0xb461, -v228
	v_fmac_f16_e64 v228, 0xb461, v34
	v_add_f16_e64 v243, v247, v243
	v_fma_f16 v247, 0xb8d2, v30, v221
	s_delay_alu instid0(VALU_DEP_1) | instskip(NEXT) | instid1(VALU_DEP_1)
	v_add_f16_e64 v247, v26, v247
	v_add_f16_e64 v118, v118, v247
	v_mul_f16_e64 v247, 0x3964, v226
	v_mul_f16_e64 v226, 0xb5c8, v226
	s_delay_alu instid0(VALU_DEP_2) | instskip(SKIP_1) | instid1(VALU_DEP_2)
	v_fma_f16 v121, v29, 0x39e9, -v247
	v_fmac_f16_e64 v247, 0x39e9, v29
	v_add_f16_e32 v113, v121, v113
	v_mul_f16_e64 v121, 0x3964, v199
	s_delay_alu instid0(VALU_DEP_1) | instskip(NEXT) | instid1(VALU_DEP_1)
	v_fmamk_f16 v122, v32, 0x39e9, v121
	v_add_f16_e64 v122, v122, v242
	v_fma_f16 v242, v29, 0x3b76, -v226
	v_fmac_f16_e64 v226, 0x3b76, v29
	s_delay_alu instid0(VALU_DEP_2) | instskip(SKIP_2) | instid1(VALU_DEP_2)
	v_add_f16_e64 v242, v242, v243
	v_mul_f16_e64 v243, 0xb5c8, v199
	v_mul_f16_e64 v199, 0xba62, v59
	v_fma_f16 v123, 0x3b76, v32, v243
	s_delay_alu instid0(VALU_DEP_1) | instskip(SKIP_1) | instid1(VALU_DEP_1)
	v_add_f16_e32 v118, v123, v118
	v_mul_f16_e64 v123, 0xbb29, v223
	v_fma_f16 v89, v37, 0x3722, -v123
	v_fmac_f16_e32 v123, 0x3722, v37
	s_delay_alu instid0(VALU_DEP_2) | instskip(SKIP_1) | instid1(VALU_DEP_1)
	v_add_f16_e32 v89, v89, v113
	v_mul_f16_e64 v113, 0xbb29, v195
	v_fmamk_f16 v90, v35, 0x3722, v113
	s_delay_alu instid0(VALU_DEP_1) | instskip(SKIP_1) | instid1(VALU_DEP_1)
	v_add_f16_e32 v90, v90, v122
	v_mul_f16_e64 v122, 0xb836, v223
	v_fma_f16 v223, v37, 0xbacd, -v122
	v_fmac_f16_e32 v122, 0xbacd, v37
	s_delay_alu instid0(VALU_DEP_2) | instskip(SKIP_1) | instid1(VALU_DEP_1)
	v_add_f16_e64 v223, v223, v242
	v_mul_f16_e64 v242, 0xb836, v195
	v_fma_f16 v93, 0xbacd, v35, v242
	s_delay_alu instid0(VALU_DEP_1) | instskip(SKIP_1) | instid1(VALU_DEP_1)
	v_add_f16_e32 v93, v93, v118
	v_mul_f16_e64 v118, 0xb1e1, v220
	v_fma_f16 v95, v33, 0xbbdd, -v118
	v_fmac_f16_e32 v118, 0xbbdd, v33
	s_delay_alu instid0(VALU_DEP_2) | instskip(SKIP_1) | instid1(VALU_DEP_1)
	v_add_f16_e32 v89, v95, v89
	v_mul_f16_e64 v95, 0xb1e1, v192
	v_fmamk_f16 v97, v36, 0xbbdd, v95
	s_delay_alu instid0(VALU_DEP_1) | instskip(SKIP_1) | instid1(VALU_DEP_1)
	v_add_f16_e32 v90, v97, v90
	v_mul_f16_e64 v97, 0x3bf7, v220
	v_fma_f16 v220, v33, 0x2de8, -v97
	v_fmac_f16_e32 v97, 0x2de8, v33
	s_delay_alu instid0(VALU_DEP_2) | instskip(SKIP_1) | instid1(VALU_DEP_1)
	v_add_f16_e64 v220, v220, v223
	v_mul_f16_e64 v223, 0x3bf7, v192
	v_fma_f16 v99, 0x2de8, v36, v223
	s_delay_alu instid0(VALU_DEP_1) | instskip(SKIP_1) | instid1(VALU_DEP_1)
	v_add_f16_e32 v93, v99, v93
	v_mul_f16_e64 v99, 0x3bf7, v219
	v_fma_f16 v100, v160, 0x2de8, -v99
	v_fmac_f16_e64 v99, 0x2de8, v160
	s_delay_alu instid0(VALU_DEP_2) | instskip(SKIP_1) | instid1(VALU_DEP_1)
	v_add_f16_e32 v89, v100, v89
	v_mul_f16_e64 v100, 0x3bf7, v165
	v_fmamk_f16 v102, v38, 0x2de8, v100
	s_delay_alu instid0(VALU_DEP_1) | instskip(SKIP_1) | instid1(VALU_DEP_1)
	v_add_f16_e32 v90, v102, v90
	v_mul_f16_e64 v102, 0xb964, v219
	v_fma_f16 v219, v160, 0x39e9, -v102
	v_fmac_f16_e64 v102, 0x39e9, v160
	s_delay_alu instid0(VALU_DEP_2) | instskip(SKIP_1) | instid1(VALU_DEP_1)
	v_add_f16_e64 v219, v219, v220
	v_mul_f16_e64 v220, 0xb964, v165
	v_fma_f16 v104, 0x39e9, v38, v220
	s_delay_alu instid0(VALU_DEP_1) | instskip(SKIP_1) | instid1(VALU_DEP_1)
	v_add_f16_e32 v93, v104, v93
	v_mul_f16_e64 v104, 0xb5c8, v217
	v_fma_f16 v106, v39, 0x3b76, -v104
	v_fmac_f16_e32 v104, 0x3b76, v39
	s_delay_alu instid0(VALU_DEP_2) | instskip(SKIP_1) | instid1(VALU_DEP_1)
	v_add_f16_e32 v89, v106, v89
	v_mul_f16_e64 v106, 0xb5c8, v186
	v_fmamk_f16 v108, v40, 0x3b76, v106
	s_delay_alu instid0(VALU_DEP_1) | instskip(SKIP_1) | instid1(VALU_DEP_1)
	v_add_f16_e32 v90, v108, v90
	v_mul_f16_e64 v108, 0xb1e1, v217
	v_fma_f16 v217, v39, 0xbbdd, -v108
	v_fmac_f16_e32 v108, 0xbbdd, v39
	s_delay_alu instid0(VALU_DEP_2) | instskip(SKIP_1) | instid1(VALU_DEP_1)
	v_add_f16_e64 v217, v217, v219
	v_mul_f16_e64 v219, 0xb1e1, v186
	v_fma_f16 v110, 0xbbdd, v40, v219
	s_delay_alu instid0(VALU_DEP_1) | instskip(SKIP_1) | instid1(VALU_DEP_1)
	v_add_f16_e32 v93, v110, v93
	v_mul_f16_e64 v110, 0xba62, v239
	v_fma_f16 v112, v27, 0xb8d2, -v110
	v_fmac_f16_e32 v110, 0xb8d2, v27
	s_delay_alu instid0(VALU_DEP_2) | instskip(SKIP_1) | instid1(VALU_DEP_1)
	v_add_f16_e32 v89, v112, v89
	v_mul_f16_e64 v112, 0x3b29, v239
	v_fma_f16 v239, v27, 0x3722, -v112
	v_fmac_f16_e32 v112, 0x3722, v27
	s_delay_alu instid0(VALU_DEP_2) | instskip(SKIP_1) | instid1(VALU_DEP_1)
	v_add_f16_e64 v217, v239, v217
	v_mul_f16_e64 v239, 0x3b29, v161
	v_fma_f16 v114, 0x3722, v28, v239
	s_delay_alu instid0(VALU_DEP_1) | instskip(SKIP_1) | instid1(VALU_DEP_1)
	v_add_f16_e32 v93, v114, v93
	v_mul_f16_e64 v114, 0xba62, v161
	v_fmamk_f16 v18, v28, 0xb8d2, v114
	s_delay_alu instid0(VALU_DEP_1) | instskip(NEXT) | instid1(VALU_DEP_4)
	v_add_f16_e32 v18, v18, v90
	v_pack_b32_f16 v90, v217, v93
	s_delay_alu instid0(VALU_DEP_2) | instskip(SKIP_1) | instid1(VALU_DEP_1)
	v_pack_b32_f16 v18, v89, v18
	v_pk_mul_f16 v89, 0x3b76, v34 op_sel_hi:[0,1]
	v_pk_fma_f16 v93, 0x35c8, v201, v89 op_sel:[0,0,1] op_sel_hi:[0,1,0] neg_lo:[0,1,0] neg_hi:[0,1,0]
	v_pk_fma_f16 v89, 0x35c8, v201, v89 op_sel:[0,0,1] op_sel_hi:[0,1,0]
	v_mul_f16_e64 v201, 0xb836, v55
	s_delay_alu instid0(VALU_DEP_3) | instskip(NEXT) | instid1(VALU_DEP_3)
	v_pk_add_f16 v93, v93, v244
	v_pk_add_f16 v89, v89, v245
	s_delay_alu instid0(VALU_DEP_2) | instskip(NEXT) | instid1(VALU_DEP_2)
	v_pk_add_f16 v93, v105, v93
	v_pk_add_f16 v89, v94, v89
	v_pk_mul_f16 v94, 0x39e9, v37 op_sel_hi:[0,1]
	s_delay_alu instid0(VALU_DEP_1) | instskip(SKIP_2) | instid1(VALU_DEP_3)
	v_pk_fma_f16 v105, 0x3964, v195, v94 op_sel:[0,0,1] op_sel_hi:[0,1,0] neg_lo:[0,1,0] neg_hi:[0,1,0]
	v_pk_fma_f16 v94, 0x3964, v195, v94 op_sel:[0,0,1] op_sel_hi:[0,1,0]
	v_mul_f16_e64 v195, 0xba62, v14
	v_pk_add_f16 v93, v105, v93
	s_delay_alu instid0(VALU_DEP_3) | instskip(SKIP_2) | instid1(VALU_DEP_2)
	v_pk_add_f16 v89, v94, v89
	v_pk_mul_f16 v94, 0xb8d2, v33 op_sel_hi:[0,1]
	v_lshrrev_b32_e32 v33, 16, v60
	v_pk_fma_f16 v105, 0xba62, v192, v94 op_sel:[0,0,1] op_sel_hi:[0,1,0] neg_lo:[0,1,0] neg_hi:[0,1,0]
	v_pk_fma_f16 v94, 0xba62, v192, v94 op_sel:[0,0,1] op_sel_hi:[0,1,0]
	v_mul_f16_e64 v192, 0xb1e1, v53
	s_delay_alu instid0(VALU_DEP_3) | instskip(NEXT) | instid1(VALU_DEP_3)
	v_pk_add_f16 v93, v105, v93
	v_pk_add_f16 v89, v94, v89
	v_pk_mul_f16 v94, 0x3722, v160 op_sel_hi:[0,1]
	v_lshrrev_b32_e32 v160, 16, v50
	s_delay_alu instid0(VALU_DEP_2) | instskip(SKIP_2) | instid1(VALU_DEP_3)
	v_pk_fma_f16 v105, 0x3b29, v165, v94 op_sel:[0,0,1] op_sel_hi:[0,1,0] neg_lo:[0,1,0] neg_hi:[0,1,0]
	v_pk_fma_f16 v94, 0x3b29, v165, v94 op_sel:[0,0,1] op_sel_hi:[0,1,0]
	v_mul_f16_e64 v165, 0x31e1, v61
	v_pk_add_f16 v93, v105, v93
	s_delay_alu instid0(VALU_DEP_3) | instskip(SKIP_2) | instid1(VALU_DEP_2)
	v_pk_add_f16 v89, v94, v89
	v_pk_mul_f16 v94, 0xb461, v39 op_sel_hi:[0,1]
	v_mul_f16_e32 v39, 0xbb29, v14
	v_pk_fma_f16 v105, 0xbbb2, v186, v94 op_sel:[0,0,1] op_sel_hi:[0,1,0] neg_lo:[0,1,0] neg_hi:[0,1,0]
	v_pk_fma_f16 v94, 0xbbb2, v186, v94 op_sel:[0,0,1] op_sel_hi:[0,1,0]
	v_mul_f16_e64 v186, 0xbbb2, v14
	s_delay_alu instid0(VALU_DEP_3) | instskip(NEXT) | instid1(VALU_DEP_3)
	v_pk_add_f16 v93, v105, v93
	v_pk_add_f16 v89, v94, v89
	v_pk_mul_f16 v94, 0x2de8, v27 op_sel_hi:[0,1]
	s_delay_alu instid0(VALU_DEP_1) | instskip(SKIP_1) | instid1(VALU_DEP_2)
	v_pk_fma_f16 v105, 0x3bf7, v161, v94 op_sel:[0,0,1] op_sel_hi:[0,1,0] neg_lo:[0,1,0] neg_hi:[0,1,0]
	v_pk_fma_f16 v94, 0x3bf7, v161, v94 op_sel:[0,0,1] op_sel_hi:[0,1,0]
	v_pk_add_f16 v93, v105, v93
	s_delay_alu instid0(VALU_DEP_2) | instskip(NEXT) | instid1(VALU_DEP_1)
	v_pk_add_f16 v89, v94, v89
	v_alignbit_b32 v94, v93, v89, 16
	v_alignbit_b32 v89, v89, v93, 16
	ds_store_2addr_b32 v133, v18, v90 offset0:5 offset1:6
	ds_store_2addr_b32 v133, v89, v94 offset0:8 offset1:9
	v_fma_f16 v89, v30, 0xb8d2, -v221
	v_fma_f16 v93, v30, 0xbacd, -v183
	;; [unrolled: 1-line block ×4, first 2 shown]
	v_add_f16_e64 v18, v228, v241
	v_add_f16_e32 v89, v26, v89
	v_add_f16_e32 v93, v26, v93
	v_mul_f16_e64 v185, 0x3836, v44
	v_mul_f16_e64 v183, 0x35c8, v55
	v_add_f16_e64 v18, v226, v18
	v_add_f16_e32 v89, v90, v89
	v_add_f16_e32 v93, v94, v93
	v_fma_f16 v94, v32, 0x3b76, -v243
	v_add_f16_e64 v90, v182, v240
	v_add_f16_e32 v18, v122, v18
	v_mul_f16_e64 v182, 0xb836, v59
	s_delay_alu instid0(VALU_DEP_4) | instskip(SKIP_1) | instid1(VALU_DEP_4)
	v_add_f16_e32 v89, v94, v89
	v_fma_f16 v94, v32, 0x2de8, -v181
	v_add_f16_e32 v18, v97, v18
	v_fma_f16 v97, v31, 0xbbdd, -v251
	v_add_f16_e64 v90, v178, v90
	v_mul_f16_e64 v178, 0xbbf7, v52
	v_add_f16_e32 v93, v94, v93
	v_fma_f16 v94, v35, 0xbacd, -v242
	v_add_f16_e32 v18, v102, v18
	v_fma_f16 v102, v31, 0xbacd, -v246
	v_add_f16_e64 v90, v176, v90
	v_mul_f16_e64 v176, 0x3bb2, v61
	v_add_f16_e32 v89, v94, v89
	v_fma_f16 v94, v35, 0xb8d2, -v177
	v_add_f16_e32 v18, v108, v18
	v_add_f16_e64 v90, v174, v90
	v_pk_fma_f16 v181, 0xba62bb29, v61, v154 op_sel:[0,0,1] op_sel_hi:[1,1,0] neg_lo:[0,1,0] neg_hi:[0,1,0]
	v_pk_fma_f16 v177, 0xb1e1bbf7, v55, v155 op_sel:[0,0,1] op_sel_hi:[1,1,0] neg_lo:[0,1,0] neg_hi:[0,1,0]
	v_add_f16_e32 v93, v94, v93
	v_fma_f16 v94, v36, 0x2de8, -v223
	v_add_f16_e32 v18, v112, v18
	v_add_f16_e64 v90, v169, v90
	v_lshrrev_b32_e32 v169, 16, v58
	v_pk_fma_f16 v174, 0x3836bbb2, v53, v156 op_sel:[0,0,1] op_sel_hi:[1,1,0] neg_lo:[0,1,0] neg_hi:[0,1,0]
	v_add_f16_e32 v89, v94, v89
	v_fma_f16 v94, v36, 0x3b76, -v175
	v_add_f16_e64 v90, v191, v90
	v_mul_f16_e64 v191, 0xbb29, v55
	v_mul_f16_e64 v175, 0xb5c8, v49
	v_pk_fma_f16 v155, 0x3bb2ba62, v49, v157 op_sel:[0,0,1] op_sel_hi:[1,1,0] neg_lo:[0,1,0] neg_hi:[0,1,0]
	v_add_f16_e32 v93, v94, v93
	v_fma_f16 v94, v38, 0x39e9, -v220
	v_add_f16_e64 v90, v210, v90
	v_mul_f16_e64 v210, 0xb1e1, v49
	v_pk_fma_f16 v156, 0x3b29b836, v52, v158 op_sel:[0,0,1] op_sel_hi:[1,1,0] neg_lo:[0,1,0] neg_hi:[0,1,0]
	v_pk_fma_f16 v154, 0x35c8b1e1, v59, v159 op_sel:[0,0,1] op_sel_hi:[1,1,0] neg_lo:[0,1,0] neg_hi:[0,1,0]
	v_add_f16_e32 v89, v94, v89
	v_fma_f16 v94, v38, 0xbbdd, -v171
	v_mul_f16_e64 v171, 0xb1e1, v44
	s_delay_alu instid0(VALU_DEP_2) | instskip(SKIP_1) | instid1(VALU_DEP_1)
	v_add_f16_e32 v93, v94, v93
	v_fma_f16 v94, v40, 0xbbdd, -v219
	v_add_f16_e32 v89, v94, v89
	v_fma_f16 v94, v40, 0x39e9, -v194
	v_mul_f16_e64 v194, 0x3bf7, v49
	s_delay_alu instid0(VALU_DEP_2) | instskip(SKIP_1) | instid1(VALU_DEP_1)
	v_add_f16_e32 v93, v94, v93
	v_fma_f16 v94, v28, 0x3722, -v239
	v_add_f16_e32 v89, v94, v89
	v_fma_f16 v94, v28, 0xb461, -v212
	v_mul_f16_e64 v212, 0xbbb2, v59
	s_delay_alu instid0(VALU_DEP_3) | instskip(NEXT) | instid1(VALU_DEP_3)
	v_pack_b32_f16 v18, v18, v89
	v_add_f16_e32 v93, v94, v93
	v_fma_f16 v94, v30, 0x2de8, -v250
	v_add_f16_e64 v89, v249, v216
	s_delay_alu instid0(VALU_DEP_3) | instskip(NEXT) | instid1(VALU_DEP_3)
	v_pack_b32_f16 v90, v90, v93
	v_add_f16_e32 v94, v26, v94
	s_delay_alu instid0(VALU_DEP_3) | instskip(NEXT) | instid1(VALU_DEP_2)
	v_add_f16_e64 v89, v252, v89
	v_add_f16_e32 v94, v97, v94
	v_add_f16_e64 v97, v101, v215
	v_fma_f16 v101, v30, 0xb461, -v116
	s_delay_alu instid0(VALU_DEP_4) | instskip(NEXT) | instid1(VALU_DEP_3)
	v_add_f16_e64 v89, v254, v89
	v_add_f16_e64 v97, v247, v97
	s_delay_alu instid0(VALU_DEP_3) | instskip(NEXT) | instid1(VALU_DEP_3)
	v_add_f16_e32 v101, v26, v101
	v_add_f16_e32 v89, v91, v89
	v_fma_f16 v91, v36, 0x3722, -v92
	s_delay_alu instid0(VALU_DEP_4) | instskip(NEXT) | instid1(VALU_DEP_4)
	v_add_f16_e32 v97, v123, v97
	v_add_f16_e32 v101, v102, v101
	v_fma_f16 v102, v32, 0xb461, -v253
	v_add_f16_e32 v89, v96, v89
	s_delay_alu instid0(VALU_DEP_4) | instskip(NEXT) | instid1(VALU_DEP_3)
	v_add_f16_e32 v92, v118, v97
	v_add_f16_e32 v94, v102, v94
	v_fma_f16 v102, v32, 0x39e9, -v121
	s_delay_alu instid0(VALU_DEP_4) | instskip(NEXT) | instid1(VALU_DEP_4)
	v_add_f16_e32 v89, v103, v89
	v_add_f16_e32 v92, v99, v92
	s_delay_alu instid0(VALU_DEP_3) | instskip(SKIP_1) | instid1(VALU_DEP_3)
	v_add_f16_e32 v101, v102, v101
	v_fma_f16 v102, v35, 0x3b76, -v255
	v_add_f16_e32 v92, v104, v92
	v_add_f16_e32 v89, v109, v89
	s_delay_alu instid0(VALU_DEP_3) | instskip(SKIP_1) | instid1(VALU_DEP_4)
	v_add_f16_e32 v94, v102, v94
	v_fma_f16 v102, v35, 0x3722, -v113
	v_add_f16_e32 v92, v110, v92
	s_delay_alu instid0(VALU_DEP_3) | instskip(NEXT) | instid1(VALU_DEP_3)
	v_add_f16_e32 v91, v91, v94
	v_add_f16_e32 v101, v102, v101
	v_fma_f16 v94, v36, 0xbbdd, -v95
	v_fma_f16 v95, v38, 0xbacd, -v98
	s_delay_alu instid0(VALU_DEP_2) | instskip(NEXT) | instid1(VALU_DEP_2)
	v_add_f16_e32 v94, v94, v101
	v_add_f16_e32 v91, v95, v91
	v_fma_f16 v95, v38, 0x2de8, -v100
	s_delay_alu instid0(VALU_DEP_1) | instskip(SKIP_1) | instid1(VALU_DEP_1)
	v_add_f16_e32 v94, v95, v94
	v_fma_f16 v95, v40, 0xb8d2, -v107
	v_add_f16_e32 v91, v95, v91
	v_fma_f16 v95, v40, 0x3b76, -v106
	s_delay_alu instid0(VALU_DEP_1) | instskip(SKIP_1) | instid1(VALU_DEP_1)
	v_add_f16_e32 v94, v95, v94
	v_fma_f16 v95, v28, 0x39e9, -v111
	v_add_f16_e32 v91, v95, v91
	v_fma_f16 v95, v28, 0xb8d2, -v114
	v_fma_f16 v28, v28, 0x3b76, -v213
	s_delay_alu instid0(VALU_DEP_3) | instskip(NEXT) | instid1(VALU_DEP_3)
	v_pack_b32_f16 v89, v89, v91
	v_add_f16_e32 v94, v95, v94
	s_delay_alu instid0(VALU_DEP_1)
	v_pack_b32_f16 v91, v92, v94
	ds_store_2addr_b32 v133, v90, v18 offset0:10 offset1:11
	v_fma_f16 v18, v30, 0x39e9, -v188
	v_fma_f16 v30, v30, 0x3722, -v225
	v_fma_f16 v92, v31, 0x2de8, -v187
	v_fma_f16 v31, v31, 0xb8d2, -v224
	v_pk_add_f16 v90, v184, v170
	v_add_f16_e32 v18, v26, v18
	v_add_f16_e32 v30, v26, v30
	v_add_f16_e64 v26, v26, v163
	v_mul_f16_e64 v188, 0x3964, v61
	v_pk_add_f16 v90, v193, v90
	v_add_f16_e32 v18, v92, v18
	v_add_f16_e32 v30, v31, v30
	v_fma_f16 v31, v32, 0xb8d2, -v196
	v_fma_f16 v32, v32, 0xbbdd, -v231
	v_add_f16_e64 v92, v218, v168
	v_pk_add_f16 v90, v200, v90
	v_add_f16_e32 v25, v25, v26
	v_add_f16_e32 v18, v31, v18
	;; [unrolled: 1-line block ×3, first 2 shown]
	v_fma_f16 v32, v35, 0xb461, -v233
	v_fma_f16 v31, v35, 0xbbdd, -v202
	v_add_f16_e64 v35, v222, v92
	v_add_f16_e64 v25, v167, v25
	v_mul_f16_e64 v193, 0x3bb2, v44
	v_add_f16_e32 v30, v32, v30
	v_fma_f16 v32, v36, 0x39e9, -v234
	v_add_f16_e32 v18, v31, v18
	v_fma_f16 v31, v36, 0xbacd, -v205
	v_pk_add_f16 v36, v203, v90
	v_add_f16_e64 v35, v227, v35
	v_add_f16_e32 v30, v32, v30
	v_fma_f16 v32, v38, 0x3b76, -v236
	v_add_f16_e32 v18, v31, v18
	v_fma_f16 v31, v38, 0xb461, -v208
	v_pk_mul_f16 v38, 0x35c8b1e1, v161
	v_pk_add_f16 v36, v207, v36
	v_add_f16_e32 v30, v32, v30
	v_add_f16_e64 v35, v230, v35
	v_add_f16_e32 v18, v31, v18
	v_fma_f16 v31, v40, 0x2de8, -v237
	v_fma_f16 v32, v40, 0x3722, -v211
	v_bfi_b32 v30, 0xffff, v30, v38
	v_mul_f16_e64 v38, 0xb836, v161
	v_add_f16_e64 v35, v229, v35
	v_pack_b32_f16 v31, v31, v214
	v_add_f16_e32 v18, v32, v18
	v_add_f16_e64 v25, v173, v25
	v_bfi_b32 v38, 0xffff, v38, v36
	v_pk_add_f16 v36, v209, v36
	v_pk_add_f16 v30, v31, v30
	v_add_f16_e64 v32, v232, v35
	v_add_f16_e32 v18, v28, v18
	v_pk_add_f16 v38, v238, v38 neg_lo:[0,1] neg_hi:[0,1]
	v_add_f16_e64 v25, v180, v25
	v_mul_f16_e64 v200, 0xb836, v14
	v_mul_f16_e64 v202, 0x3b29, v44
	;; [unrolled: 1-line block ×3, first 2 shown]
	v_bfi_b32 v31, 0xffff, v38, v36
	v_add_f16_e64 v25, v190, v25
	v_mul_f16_e32 v38, 0xba62, v44
	v_mul_f16_e64 v170, 0x3bb2, v55
	v_mul_f16_e64 v173, 0x3964, v53
	v_pk_add_f16 v28, v31, v30
	v_add_f16_e64 v30, v235, v32
	v_add_f16_e64 v25, v198, v25
	v_fma_f16 v32, v43, 0xb8d2, -v38
	v_mul_f16_e64 v184, 0xbb29, v53
	v_alignbit_b32 v18, v18, v28, 16
	v_pack_b32_f16 v28, v30, v28
	ds_store_2addr_b32 v133, v91, v89 offset0:12 offset1:13
	v_add_f16_e64 v30, v164, v162
	v_add_f16_e64 v25, v204, v25
	v_mul_f16_e64 v204, 0xbbf7, v61
	v_mul_f16_e64 v203, 0x3bf7, v53
	;; [unrolled: 1-line block ×3, first 2 shown]
	v_add_f16_e64 v29, v166, v30
	v_lshrrev_b32_e32 v30, 16, v42
	v_lshrrev_b32_e32 v163, 16, v48
	v_mul_f16_e64 v162, 0x3bb2, v49
	v_mul_f16_e64 v187, 0xb836, v49
	v_add_f16_e64 v26, v172, v29
	v_mul_f16_e32 v29, 0xb964, v14
	v_mul_f16_e64 v172, 0xbbf7, v14
	v_mul_f16_e64 v205, 0xb964, v49
	;; [unrolled: 1-line block ×3, first 2 shown]
	v_add_f16_e64 v26, v179, v26
	v_fma_f16 v27, v30, 0x39e9, -v29
	v_lshrrev_b32_e32 v167, 16, v51
	v_mul_f16_e64 v166, 0x3b29, v52
	v_mul_f16_e64 v198, 0xb5c8, v52
	v_add_f16_e64 v26, v189, v26
	v_mul_f16_e64 v189, 0x3a62, v52
	v_mul_f16_e64 v207, 0xb1e1, v52
	;; [unrolled: 1-line block ×4, first 2 shown]
	v_add_f16_e64 v26, v197, v26
	v_mul_f16_e64 v197, 0xb5c8, v124
	v_mul_f16_e64 v168, 0x35c8, v59
	;; [unrolled: 1-line block ×4, first 2 shown]
	v_add_f16_e64 v26, v206, v26
	v_mul_f16_e64 v206, 0x3a62, v55
	v_pk_fma_f16 v179, 0xb964b5c8, v14, v57 op_sel:[0,0,1] op_sel_hi:[1,1,0] neg_lo:[0,1,0] neg_hi:[0,1,0]
	v_pk_fma_f16 v180, 0x2de839e9, v43, v130 neg_lo:[0,0,1] neg_hi:[0,0,1]
	v_add_co_u32 v57, s2, v115, 51
	v_pack_b32_f16 v89, v26, v25
	ds_store_2addr_b32 v133, v28, v18 offset0:14 offset1:15
	v_mul_f16_e32 v25, 0xb964, v125
	v_fma_f16 v18, 0x3b76, v42, v197
	v_mul_u32_u24_e32 v124, 17, v57
	ds_store_b32 v133, v89 offset:64
	s_wait_alu 0xf1ff
	v_add_co_ci_u32_e64 v89, null, 0, 0, s2
	v_add_f16_e32 v18, v18, v0
	v_fmamk_f16 v26, v45, 0x39e9, v25
	s_delay_alu instid0(VALU_DEP_1) | instskip(SKIP_1) | instid1(VALU_DEP_1)
	v_add_f16_e32 v18, v26, v18
	v_lshrrev_b32_e32 v26, 16, v0
	v_add_f16_e32 v28, v27, v26
	v_mul_f16_e32 v27, 0xbbf7, v44
	s_delay_alu instid0(VALU_DEP_1) | instskip(NEXT) | instid1(VALU_DEP_1)
	v_fma_f16 v31, v43, 0x2de8, -v27
	v_add_f16_e32 v31, v31, v28
	v_fma_f16 v28, v30, 0x3722, -v39
	s_delay_alu instid0(VALU_DEP_1) | instskip(NEXT) | instid1(VALU_DEP_1)
	v_add_f16_e32 v28, v28, v26
	v_add_f16_e32 v34, v32, v28
	v_fma_f16 v28, v30, 0x2de8, -v172
	v_fma_f16 v32, v43, 0xbbdd, -v171
	s_delay_alu instid0(VALU_DEP_2) | instskip(NEXT) | instid1(VALU_DEP_1)
	v_add_f16_e32 v28, v28, v26
	v_add_f16_e32 v35, v32, v28
	v_fma_f16 v28, v30, 0xb461, -v186
	v_fma_f16 v32, v43, 0xbacd, -v185
	s_delay_alu instid0(VALU_DEP_2) | instskip(NEXT) | instid1(VALU_DEP_1)
	;; [unrolled: 5-line block ×4, first 2 shown]
	v_add_f16_e32 v28, v28, v26
	v_add_f16_e32 v40, v32, v28
	v_mul_f16_e64 v28, 0xbb29, v132
	s_delay_alu instid0(VALU_DEP_1) | instskip(NEXT) | instid1(VALU_DEP_1)
	v_fmamk_f16 v32, v60, 0x3722, v28
	v_add_f16_e32 v18, v32, v18
	v_mul_f16_e32 v32, 0xba62, v61
	s_delay_alu instid0(VALU_DEP_1) | instskip(NEXT) | instid1(VALU_DEP_1)
	v_fma_f16 v90, v33, 0xb8d2, -v32
	v_add_f16_e32 v90, v90, v31
	v_fma_f16 v31, v33, 0xbbdd, -v165
	s_delay_alu instid0(VALU_DEP_1) | instskip(SKIP_1) | instid1(VALU_DEP_1)
	v_add_f16_e32 v34, v31, v34
	v_fma_f16 v31, v33, 0xb461, -v176
	v_add_f16_e32 v91, v31, v35
	v_fma_f16 v31, v33, 0x39e9, -v188
	s_delay_alu instid0(VALU_DEP_1) | instskip(SKIP_2) | instid1(VALU_DEP_2)
	v_add_f16_e32 v92, v31, v36
	v_fma_f16 v31, v33, 0x3b76, -v196
	v_lshrrev_b32_e32 v36, 16, v54
	v_add_f16_e32 v37, v31, v37
	v_fma_f16 v31, v33, 0x2de8, -v204
	s_delay_alu instid0(VALU_DEP_1) | instskip(SKIP_1) | instid1(VALU_DEP_1)
	v_add_f16_e32 v40, v31, v40
	v_mul_f16_e64 v31, 0xbbf7, v131
	v_fmamk_f16 v35, v54, 0x2de8, v31
	s_delay_alu instid0(VALU_DEP_1) | instskip(SKIP_1) | instid1(VALU_DEP_1)
	v_add_f16_e32 v18, v35, v18
	v_mul_f16_e32 v35, 0xb1e1, v55
	v_fma_f16 v93, v36, 0xbbdd, -v35
	s_delay_alu instid0(VALU_DEP_1) | instskip(SKIP_1) | instid1(VALU_DEP_1)
	v_add_f16_e32 v90, v93, v90
	v_fma_f16 v93, v36, 0xb461, -v170
	v_add_f16_e32 v93, v93, v34
	v_fma_f16 v34, v36, 0x3b76, -v183
	s_delay_alu instid0(VALU_DEP_1) | instskip(SKIP_1) | instid1(VALU_DEP_1)
	v_add_f16_e32 v91, v34, v91
	v_fma_f16 v34, v36, 0x3722, -v191
	v_add_f16_e32 v92, v34, v92
	;; [unrolled: 5-line block ×3, first 2 shown]
	v_mul_f16_e64 v34, 0xbbb2, v128
	s_delay_alu instid0(VALU_DEP_1) | instskip(NEXT) | instid1(VALU_DEP_1)
	v_fmamk_f16 v40, v50, 0xb461, v34
	v_add_f16_e32 v18, v40, v18
	v_mul_f16_e32 v40, 0x3836, v53
	s_delay_alu instid0(VALU_DEP_1) | instskip(NEXT) | instid1(VALU_DEP_1)
	v_fma_f16 v95, v160, 0xbacd, -v40
	v_add_f16_e32 v90, v95, v90
	v_fma_f16 v95, v160, 0x39e9, -v173
	s_delay_alu instid0(VALU_DEP_1) | instskip(SKIP_1) | instid1(VALU_DEP_1)
	v_add_f16_e32 v93, v95, v93
	v_fma_f16 v95, v160, 0x3722, -v184
	v_add_f16_e32 v91, v95, v91
	v_fma_f16 v95, v160, 0xbbdd, -v192
	s_delay_alu instid0(VALU_DEP_1) | instskip(SKIP_1) | instid1(VALU_DEP_1)
	v_add_f16_e32 v92, v95, v92
	;; [unrolled: 5-line block ×3, first 2 shown]
	v_mul_f16_e32 v37, 0xba62, v126
	v_fmamk_f16 v96, v48, 0xb8d2, v37
	s_delay_alu instid0(VALU_DEP_1) | instskip(SKIP_1) | instid1(VALU_DEP_1)
	v_add_f16_e32 v18, v96, v18
	v_fma_f16 v96, v163, 0xb461, -v162
	v_add_f16_e32 v90, v96, v90
	v_fma_f16 v96, v163, 0x3b76, -v175
	s_delay_alu instid0(VALU_DEP_1) | instskip(SKIP_1) | instid1(VALU_DEP_1)
	v_add_f16_e32 v93, v96, v93
	v_fma_f16 v96, v163, 0xbacd, -v187
	v_add_f16_e32 v91, v96, v91
	v_fma_f16 v96, v163, 0x2de8, -v194
	;; [unrolled: 5-line block ×3, first 2 shown]
	s_delay_alu instid0(VALU_DEP_1) | instskip(SKIP_1) | instid1(VALU_DEP_1)
	v_add_f16_e32 v94, v96, v94
	v_fma_f16 v96, 0xbacd, v51, v161
	v_add_f16_e32 v18, v96, v18
	v_fma_f16 v96, v167, 0x3722, -v166
	s_delay_alu instid0(VALU_DEP_1) | instskip(SKIP_1) | instid1(VALU_DEP_1)
	v_add_f16_e32 v90, v96, v90
	v_fma_f16 v96, v167, 0x2de8, -v178
	v_add_f16_e32 v93, v96, v93
	v_fma_f16 v96, v167, 0xb8d2, -v189
	s_delay_alu instid0(VALU_DEP_1) | instskip(SKIP_1) | instid1(VALU_DEP_1)
	v_add_f16_e32 v91, v96, v91
	v_fma_f16 v96, v167, 0x3b76, -v198
	;; [unrolled: 5-line block ×3, first 2 shown]
	v_add_f16_e32 v94, v96, v94
	v_fma_f16 v96, 0xbbdd, v58, v164
	s_delay_alu instid0(VALU_DEP_1) | instskip(SKIP_1) | instid1(VALU_DEP_1)
	v_add_f16_e32 v125, v96, v18
	v_fma_f16 v18, v169, 0x3b76, -v168
	v_add_f16_e64 v223, v18, v90
	v_fma_f16 v18, v169, 0xbacd, -v182
	s_delay_alu instid0(VALU_DEP_1) | instskip(SKIP_1) | instid1(VALU_DEP_1)
	v_add_f16_e64 v224, v18, v93
	v_fma_f16 v18, v169, 0x39e9, -v190
	v_add_f16_e64 v225, v18, v91
	v_fma_f16 v18, v169, 0xb8d2, -v199
	s_delay_alu instid0(VALU_DEP_1) | instskip(SKIP_1) | instid1(VALU_DEP_1)
	v_add_f16_e64 v221, v18, v92
	;; [unrolled: 5-line block ×3, first 2 shown]
	v_add_f16_e64 v18, v179, v26
	v_add_f16_e64 v18, v180, v18
	s_delay_alu instid0(VALU_DEP_1) | instskip(NEXT) | instid1(VALU_DEP_1)
	v_add_f16_e64 v18, v181, v18
	v_add_f16_e64 v18, v177, v18
	s_delay_alu instid0(VALU_DEP_1) | instskip(NEXT) | instid1(VALU_DEP_1)
	;; [unrolled: 3-line block ×3, first 2 shown]
	v_add_f16_e64 v18, v156, v18
	v_add_f16_e64 v226, v154, v18
	s_and_saveexec_b32 s2, vcc_lo
	s_cbranch_execz .LBB0_7
; %bb.6:
	v_alignbit_b32 v18, v135, v135, 16
	v_alignbit_b32 v135, v0, v0, 16
	v_pk_mul_f16 v14, 0xb1e1, v14 op_sel_hi:[0,1]
	s_delay_alu instid0(VALU_DEP_2) | instskip(NEXT) | instid1(VALU_DEP_1)
	v_pk_add_f16 v1, v1, v135 op_sel:[0,1] op_sel_hi:[1,0]
	v_pk_add_f16 v1, v18, v1
	v_mul_f16_e64 v18, 0xbbdd, v163
	s_delay_alu instid0(VALU_DEP_2) | instskip(SKIP_1) | instid1(VALU_DEP_3)
	v_pk_add_f16 v1, v15, v1
	v_mul_f16_e32 v15, 0xb8d2, v30
	v_add_f16_e64 v18, v210, v18
	s_delay_alu instid0(VALU_DEP_3) | instskip(SKIP_1) | instid1(VALU_DEP_4)
	v_pk_add_f16 v1, v10, v1
	v_mul_f16_e32 v10, 0xb8d2, v36
	v_add_f16_e64 v15, v195, v15
	s_delay_alu instid0(VALU_DEP_3) | instskip(SKIP_1) | instid1(VALU_DEP_4)
	v_pk_add_f16 v1, v11, v1
	v_mul_f16_e32 v11, 0x3722, v45
	v_add_f16_e64 v10, v206, v10
	s_delay_alu instid0(VALU_DEP_3) | instskip(NEXT) | instid1(VALU_DEP_3)
	v_pk_add_f16 v1, v12, v1
	v_sub_f16_e64 v11, v11, v149
	v_mul_f16_e64 v12, 0x3b76, v160
	s_delay_alu instid0(VALU_DEP_3) | instskip(SKIP_1) | instid1(VALU_DEP_3)
	v_pk_add_f16 v1, v13, v1
	v_mul_f16_e32 v13, 0x2de8, v60
	v_add_f16_e64 v12, v209, v12
	s_delay_alu instid0(VALU_DEP_3) | instskip(SKIP_1) | instid1(VALU_DEP_4)
	v_pk_add_f16 v1, v8, v1
	v_mul_f16_e32 v8, 0x3722, v42
	v_sub_f16_e64 v13, v13, v150
	s_delay_alu instid0(VALU_DEP_3) | instskip(SKIP_1) | instid1(VALU_DEP_4)
	v_pk_add_f16 v1, v9, v1
	v_mul_f16_e32 v9, 0x3b76, v42
	v_sub_f16_e32 v8, v8, v56
	v_mul_f16_e32 v56, 0xb8d2, v54
	s_delay_alu instid0(VALU_DEP_4)
	v_pk_add_f16 v1, v6, v1
	v_mul_f16_e32 v6, 0xb461, v42
	v_sub_f16_e64 v9, v9, v197
	v_add_f16_e32 v8, v8, v0
	v_sub_f16_e64 v56, v56, v151
	v_pk_add_f16 v1, v7, v1
	v_mul_f16_e32 v7, 0x2de8, v42
	v_sub_f16_e64 v6, v6, v145
	s_delay_alu instid0(VALU_DEP_3) | instskip(SKIP_1) | instid1(VALU_DEP_4)
	v_pk_add_f16 v1, v4, v1
	v_mul_f16_e32 v4, 0xbacd, v42
	v_sub_f16_e64 v7, v7, v143
	s_delay_alu instid0(VALU_DEP_4) | instskip(NEXT) | instid1(VALU_DEP_4)
	v_add_f16_e32 v6, v6, v0
	v_pk_add_f16 v1, v5, v1
	v_mul_f16_e32 v5, 0xb8d2, v42
	v_sub_f16_e64 v4, v4, v153
	v_add_f16_e32 v7, v7, v0
	s_delay_alu instid0(VALU_DEP_4) | instskip(SKIP_3) | instid1(VALU_DEP_4)
	v_pk_add_f16 v1, v2, v1
	v_mul_f16_e32 v2, 0xbacd, v30
	v_sub_f16_e64 v5, v5, v152
	v_add_f16_e32 v4, v4, v0
	v_pk_add_f16 v1, v3, v1
	s_delay_alu instid0(VALU_DEP_4)
	v_add_f16_e64 v2, v200, v2
	v_mul_f16_e32 v3, 0x3722, v43
	v_add_f16_e32 v5, v5, v0
	v_add_f16_e32 v0, v9, v0
	v_mul_f16_e32 v9, 0x2de8, v33
	v_add_f16_e32 v2, v2, v26
	v_add_f16_e64 v3, v202, v3
	v_add_f16_e32 v4, v11, v4
	v_mul_f16_e32 v11, 0x3b76, v33
	v_add_f16_e64 v9, v204, v9
	v_pk_add_f16 v1, v41, v1
	v_add_f16_e32 v2, v3, v2
	v_mul_f16_e32 v3, 0xb461, v43
	v_add_f16_e32 v4, v13, v4
	v_add_f16_e64 v11, v196, v11
	v_mul_f16_e32 v13, 0xbacd, v43
	v_add_f16_e32 v2, v9, v2
	v_mul_f16_e64 v9, 0x39e9, v167
	v_add_f16_e64 v3, v193, v3
	v_add_f16_e32 v4, v56, v4
	v_add_f16_e64 v13, v185, v13
	v_add_f16_e32 v2, v10, v2
	v_mul_f16_e32 v10, 0x3b76, v50
	v_add_f16_e64 v9, v211, v9
	s_delay_alu instid0(VALU_DEP_3) | instskip(NEXT) | instid1(VALU_DEP_3)
	v_add_f16_e32 v2, v12, v2
	v_sub_f16_e64 v10, v10, v148
	v_add_f16_e32 v12, v15, v26
	v_mul_f16_e32 v15, 0xbbdd, v43
	s_delay_alu instid0(VALU_DEP_4) | instskip(NEXT) | instid1(VALU_DEP_4)
	v_add_f16_e32 v2, v18, v2
	v_add_f16_e32 v4, v10, v4
	s_delay_alu instid0(VALU_DEP_4)
	v_add_f16_e32 v3, v3, v12
	v_mul_f16_e32 v10, 0xbacd, v36
	v_mul_f16_e32 v12, 0xb461, v45
	v_add_f16_e32 v2, v9, v2
	v_mul_f16_e32 v9, 0xbbdd, v48
	v_add_f16_e32 v3, v11, v3
	v_add_f16_e64 v10, v201, v10
	v_mul_f16_e64 v11, 0xb461, v169
	v_sub_f16_e64 v12, v12, v141
	v_sub_f16_e64 v9, v9, v147
	v_add_f16_e64 v15, v171, v15
	v_add_f16_e32 v3, v10, v3
	v_mul_f16_e64 v10, 0x2de8, v160
	v_add_f16_e64 v11, v212, v11
	v_add_f16_e32 v4, v9, v4
	v_mul_f16_e32 v9, 0x39e9, v51
	v_add_f16_e32 v5, v12, v5
	v_add_f16_e64 v10, v203, v10
	v_add_f16_e32 v2, v11, v2
	v_mul_f16_e32 v11, 0xb461, v58
	v_sub_f16_e64 v9, v9, v146
	v_mul_f16_e32 v12, 0xb461, v30
	v_add_f16_e32 v3, v10, v3
	v_mul_f16_e32 v10, 0x3b76, v60
	v_sub_f16_e64 v11, v11, v144
	v_add_f16_e32 v4, v9, v4
	v_mul_f16_e64 v9, 0x39e9, v163
	v_add_f16_e64 v12, v186, v12
	v_sub_f16_e64 v10, v10, v142
	v_mul_f16_e32 v18, 0xb8d2, v43
	v_add_f16_e32 v4, v11, v4
	v_add_f16_e64 v9, v205, v9
	v_mul_f16_e32 v11, 0x39e9, v33
	v_add_f16_e32 v5, v10, v5
	v_mul_f16_e32 v10, 0xbacd, v54
	v_add_f16_e32 v18, v38, v18
	v_add_f16_e32 v3, v9, v3
	v_mul_f16_e64 v9, 0xbbdd, v167
	v_add_f16_e64 v11, v188, v11
	v_sub_f16_e64 v10, v10, v139
	s_delay_alu instid0(VALU_DEP_3) | instskip(NEXT) | instid1(VALU_DEP_2)
	v_add_f16_e64 v9, v207, v9
	v_add_f16_e32 v5, v10, v5
	v_add_f16_e32 v10, v12, v26
	v_mul_f16_e64 v12, 0x3722, v169
	s_delay_alu instid0(VALU_DEP_4) | instskip(SKIP_1) | instid1(VALU_DEP_4)
	v_add_f16_e32 v3, v9, v3
	v_mul_f16_e32 v9, 0x2de8, v50
	v_add_f16_e32 v10, v13, v10
	v_mul_f16_e32 v13, 0xbacd, v45
	v_add_f16_e64 v12, v208, v12
	s_delay_alu instid0(VALU_DEP_4) | instskip(NEXT) | instid1(VALU_DEP_4)
	v_sub_f16_e64 v9, v9, v140
	v_add_f16_e32 v10, v11, v10
	v_mul_f16_e32 v11, 0x3722, v36
	v_sub_f16_e64 v13, v13, v134
	s_delay_alu instid0(VALU_DEP_4)
	v_add_f16_e32 v5, v9, v5
	v_mul_f16_e32 v9, 0x39e9, v48
	v_add_f16_e32 v3, v12, v3
	v_add_f16_e64 v11, v191, v11
	v_add_f16_e32 v6, v13, v6
	v_mul_f16_e32 v13, 0x39e9, v60
	v_sub_f16_e64 v9, v9, v138
	v_mul_f16_e32 v12, 0x3722, v58
	v_add_f16_e32 v10, v11, v10
	v_mul_f16_e64 v11, 0xbbdd, v160
	v_sub_f16_e32 v13, v13, v87
	v_add_f16_e32 v5, v9, v5
	v_mul_f16_e32 v9, 0xbbdd, v51
	v_sub_f16_e64 v12, v12, v136
	v_add_f16_e64 v11, v192, v11
	v_add_f16_e32 v6, v13, v6
	v_mul_f16_e32 v13, 0x2de8, v30
	v_sub_f16_e64 v9, v9, v137
	s_delay_alu instid0(VALU_DEP_2) | instskip(NEXT) | instid1(VALU_DEP_2)
	v_add_f16_e64 v13, v172, v13
	v_add_f16_e32 v5, v9, v5
	v_add_f16_e32 v9, v11, v10
	v_mul_f16_e64 v10, 0x2de8, v163
	v_mul_f16_e32 v11, 0x3722, v54
	s_delay_alu instid0(VALU_DEP_4) | instskip(SKIP_1) | instid1(VALU_DEP_4)
	v_add_f16_e32 v5, v12, v5
	v_mul_f16_e32 v12, 0xb461, v33
	v_add_f16_e64 v10, v194, v10
	s_delay_alu instid0(VALU_DEP_4) | instskip(NEXT) | instid1(VALU_DEP_4)
	v_sub_f16_e32 v11, v11, v86
	v_pack_b32_f16 v3, v5, v3
	s_delay_alu instid0(VALU_DEP_4) | instskip(NEXT) | instid1(VALU_DEP_4)
	v_add_f16_e64 v12, v176, v12
	v_add_f16_e32 v9, v10, v9
	v_mul_f16_e64 v10, 0x3b76, v167
	v_add_f16_e32 v6, v11, v6
	v_mul_f16_e32 v11, 0xbbdd, v50
	s_delay_alu instid0(VALU_DEP_3) | instskip(NEXT) | instid1(VALU_DEP_2)
	v_add_f16_e64 v10, v198, v10
	v_sub_f16_e32 v11, v11, v85
	s_delay_alu instid0(VALU_DEP_2) | instskip(SKIP_1) | instid1(VALU_DEP_3)
	v_add_f16_e32 v9, v10, v9
	v_mul_f16_e32 v10, 0x2de8, v48
	v_add_f16_e32 v6, v11, v6
	v_add_f16_e32 v11, v13, v26
	v_mul_f16_e64 v13, 0xb8d2, v169
	s_delay_alu instid0(VALU_DEP_4) | instskip(NEXT) | instid1(VALU_DEP_3)
	v_sub_f16_e32 v10, v10, v84
	v_add_f16_e32 v11, v15, v11
	v_mul_f16_e32 v15, 0xbbdd, v45
	s_delay_alu instid0(VALU_DEP_4) | instskip(NEXT) | instid1(VALU_DEP_4)
	v_add_f16_e64 v13, v199, v13
	v_add_f16_e32 v6, v10, v6
	v_mul_f16_e32 v10, 0x3b76, v51
	v_add_f16_e32 v11, v12, v11
	v_mul_f16_e32 v12, 0x3b76, v36
	v_sub_f16_e32 v15, v15, v80
	v_add_f16_e32 v9, v13, v9
	v_sub_f16_e32 v10, v10, v83
	v_mul_f16_e32 v13, 0xb8d2, v58
	v_add_f16_e64 v12, v183, v12
	v_add_f16_e32 v7, v15, v7
	v_mul_f16_e32 v15, 0x3722, v30
	v_add_f16_e32 v6, v10, v6
	v_sub_f16_e32 v13, v13, v82
	v_add_f16_e32 v10, v12, v11
	v_mul_f16_e32 v12, 0xb461, v60
	v_add_f16_e32 v15, v39, v15
	v_mul_f16_e64 v11, 0x3722, v160
	v_add_f16_e32 v6, v13, v6
	v_mul_f16_e32 v13, 0xb461, v36
	v_sub_f16_e32 v12, v12, v81
	v_add_f16_e32 v15, v15, v26
	v_add_f16_e64 v11, v184, v11
	v_pack_b32_f16 v5, v6, v9
	v_add_f16_e64 v13, v170, v13
	v_add_f16_e32 v7, v12, v7
	v_mul_f16_e32 v12, 0x3b76, v54
	v_add_f16_e32 v15, v18, v15
	v_mul_f16_e32 v18, 0xbbdd, v33
	v_add_f16_e32 v10, v11, v10
	v_mul_f16_e64 v11, 0xbacd, v163
	v_sub_f16_e32 v12, v12, v79
	s_delay_alu instid0(VALU_DEP_4) | instskip(NEXT) | instid1(VALU_DEP_3)
	v_add_f16_e64 v18, v165, v18
	v_add_f16_e64 v11, v187, v11
	s_delay_alu instid0(VALU_DEP_3) | instskip(SKIP_1) | instid1(VALU_DEP_3)
	v_add_f16_e32 v7, v12, v7
	v_mul_f16_e32 v12, 0x3722, v50
	v_add_f16_e32 v10, v11, v10
	v_mul_f16_e64 v11, 0xb8d2, v167
	s_delay_alu instid0(VALU_DEP_3) | instskip(NEXT) | instid1(VALU_DEP_2)
	v_sub_f16_e32 v12, v12, v78
	v_add_f16_e64 v11, v189, v11
	s_delay_alu instid0(VALU_DEP_2)
	v_add_f16_e32 v7, v12, v7
	v_add_f16_e32 v12, v18, v15
	v_mul_f16_e32 v18, 0xb8d2, v45
	v_mul_f16_e64 v15, 0x39e9, v169
	v_add_f16_e32 v10, v11, v10
	v_mul_f16_e32 v11, 0xbacd, v48
	v_add_f16_e32 v12, v13, v12
	v_mul_f16_e64 v13, 0x39e9, v160
	v_sub_f16_e32 v18, v18, v47
	v_add_f16_e64 v15, v190, v15
	v_sub_f16_e32 v11, v11, v77
	s_delay_alu instid0(VALU_DEP_4) | instskip(NEXT) | instid1(VALU_DEP_4)
	v_add_f16_e64 v13, v173, v13
	v_add_f16_e32 v8, v18, v8
	v_mul_f16_e32 v18, 0xbbdd, v60
	v_add_f16_e32 v10, v15, v10
	v_mul_f16_e32 v15, 0x39e9, v30
	v_add_f16_e32 v12, v13, v12
	v_mul_f16_e64 v13, 0x3b76, v163
	v_sub_f16_e32 v18, v18, v72
	v_add_f16_e32 v7, v11, v7
	v_add_f16_e32 v15, v29, v15
	v_mul_f16_e32 v11, 0xb8d2, v51
	v_add_f16_e64 v13, v175, v13
	v_add_f16_e32 v8, v18, v8
	v_mul_f16_e32 v18, 0x2de8, v43
	v_add_f16_e32 v15, v15, v26
	v_mul_f16_e64 v26, 0x2de8, v167
	v_add_f16_e32 v12, v13, v12
	v_mul_f16_e32 v13, 0xb461, v54
	v_add_f16_e32 v18, v27, v18
	v_sub_f16_e32 v11, v11, v76
	v_add_f16_e64 v26, v178, v26
	v_mul_f16_e32 v27, 0x39e9, v45
	v_sub_f16_e32 v13, v13, v71
	v_add_f16_e32 v15, v18, v15
	v_mul_f16_e32 v18, 0xb8d2, v33
	v_add_f16_e32 v7, v11, v7
	v_mul_f16_e32 v11, 0x39e9, v58
	;; [unrolled: 2-line block ×3, first 2 shown]
	v_add_f16_e32 v18, v32, v18
	v_add_f16_e32 v12, v26, v12
	v_mul_f16_e64 v26, 0xbacd, v169
	v_sub_f16_e32 v11, v11, v75
	v_sub_f16_e32 v13, v13, v70
	v_add_f16_e32 v15, v18, v15
	v_mul_f16_e32 v18, 0xbbdd, v36
	v_add_f16_e64 v26, v182, v26
	v_sub_f16_e32 v25, v27, v25
	v_add_f16_e32 v8, v13, v8
	v_mul_f16_e32 v13, 0x3b76, v48
	v_add_f16_e32 v18, v35, v18
	v_add_f16_e32 v7, v11, v7
	;; [unrolled: 1-line block ×4, first 2 shown]
	v_sub_f16_e32 v13, v13, v69
	v_add_f16_e32 v15, v18, v15
	v_mul_f16_e64 v18, 0xbacd, v160
	v_bfi_b32 v25, 0xffff, v63, v181
	v_bfi_b32 v26, 0xffff, v64, v177
	v_add_f16_e32 v8, v13, v8
	v_mul_f16_e32 v13, 0x2de8, v51
	v_add_f16_e32 v18, v40, v18
	v_bfi_b32 v27, 0xffff, v66, v155
	v_pk_mul_f16 v29, 0xba62, v53 op_sel_hi:[0,1]
	v_pack_b32_f16 v7, v7, v10
	v_sub_f16_e32 v13, v13, v73
	v_add_f16_e32 v12, v18, v15
	v_mul_f16_e64 v15, 0xb461, v163
	v_bfi_b32 v18, 0xffff, v62, v180
	s_delay_alu instid0(VALU_DEP_4) | instskip(SKIP_1) | instid1(VALU_DEP_4)
	v_add_f16_e32 v8, v13, v8
	v_mul_f16_e32 v13, 0x3722, v60
	v_add_f16_e64 v15, v162, v15
	s_delay_alu instid0(VALU_DEP_2) | instskip(NEXT) | instid1(VALU_DEP_2)
	v_sub_f16_e32 v13, v13, v28
	v_add_f16_e32 v12, v15, v12
	v_bfi_b32 v15, 0xffff, v46, v179
	s_delay_alu instid0(VALU_DEP_3) | instskip(SKIP_1) | instid1(VALU_DEP_3)
	v_add_f16_e32 v0, v13, v0
	v_mul_f16_e32 v13, 0x2de8, v54
	v_pk_add_f16 v15, v15, v135
	s_delay_alu instid0(VALU_DEP_2) | instskip(NEXT) | instid1(VALU_DEP_2)
	v_sub_f16_e32 v13, v13, v31
	v_pk_add_f16 v15, v18, v15
	v_mul_f16_e64 v18, 0x3722, v167
	s_delay_alu instid0(VALU_DEP_3) | instskip(SKIP_1) | instid1(VALU_DEP_3)
	v_add_f16_e32 v0, v13, v0
	v_mul_f16_e32 v13, 0xb461, v50
	v_add_f16_e64 v18, v166, v18
	s_delay_alu instid0(VALU_DEP_2) | instskip(NEXT) | instid1(VALU_DEP_2)
	v_sub_f16_e32 v13, v13, v34
	v_add_f16_e32 v12, v18, v12
	v_bfi_b32 v18, 0xffff, v65, v174
	s_delay_alu instid0(VALU_DEP_3) | instskip(SKIP_3) | instid1(VALU_DEP_3)
	v_add_f16_e32 v0, v13, v0
	v_pk_add_f16 v13, v25, v15
	v_mul_f16_e32 v15, 0xb8d2, v48
	v_mul_f16_e32 v25, 0xbacd, v58
	v_pk_add_f16 v13, v26, v13
	s_delay_alu instid0(VALU_DEP_3) | instskip(NEXT) | instid1(VALU_DEP_3)
	v_sub_f16_e32 v15, v15, v37
	v_sub_f16_e32 v25, v25, v74
	v_mul_f16_e64 v26, 0x3b76, v169
	s_delay_alu instid0(VALU_DEP_4) | instskip(NEXT) | instid1(VALU_DEP_4)
	v_pk_add_f16 v13, v18, v13
	v_add_f16_e32 v0, v15, v0
	v_mul_f16_e32 v15, 0xbacd, v51
	v_bfi_b32 v18, 0xffff, v67, v156
	v_add_f16_e64 v26, v168, v26
	v_pk_add_f16 v13, v27, v13
	v_add_f16_e32 v8, v25, v8
	v_sub_f16_e64 v15, v15, v161
	v_bfi_b32 v25, 0xffff, v68, v154
	v_add_f16_e32 v12, v26, v12
	v_pk_add_f16 v13, v18, v13
	v_pk_mul_f16 v18, 0x35c8, v44 op_sel_hi:[0,1]
	v_add_f16_e32 v0, v15, v0
	v_mul_f16_e32 v15, 0xbbdd, v58
	v_pack_b32_f16 v8, v8, v11
	v_pk_add_f16 v13, v25, v13
	v_pk_fma_f16 v25, 0x3b76, v43, v18 op_sel_hi:[0,1,1] neg_lo:[0,0,1] neg_hi:[0,0,1]
	v_pk_fma_f16 v18, 0x3b76, v43, v18 op_sel_hi:[0,1,1]
	v_sub_f16_e64 v15, v15, v164
	v_pk_mul_f16 v11, 0x3b29, v49 op_sel_hi:[0,1]
	v_alignbit_b32 v12, v12, v13, 16
	s_delay_alu instid0(VALU_DEP_4) | instskip(NEXT) | instid1(VALU_DEP_4)
	v_alignbit_b32 v28, v18, v25, 16
	v_add_f16_e32 v0, v15, v0
	v_pk_fma_f16 v15, 0xbbdd, v42, v14 op_sel:[0,0,1] op_sel_hi:[0,1,0] neg_lo:[0,0,1] neg_hi:[0,0,1]
	v_pk_fma_f16 v14, 0xbbdd, v42, v14 op_sel:[0,0,1] op_sel_hi:[0,1,0]
	v_alignbit_b32 v18, v25, v18, 16
	s_delay_alu instid0(VALU_DEP_4) | instskip(SKIP_1) | instid1(VALU_DEP_4)
	v_pack_b32_f16 v0, v0, v13
	v_pk_mul_f16 v13, 0xb836, v61 op_sel_hi:[0,1]
	v_bfi_b32 v27, 0xffff, v15, v14
	v_bfi_b32 v14, 0xffff, v14, v15
	v_pk_mul_f16 v15, 0x3964, v55 op_sel_hi:[0,1]
	s_delay_alu instid0(VALU_DEP_4) | instskip(SKIP_3) | instid1(VALU_DEP_3)
	v_pk_fma_f16 v26, 0xbacd, v60, v13 op_sel:[0,0,1] op_sel_hi:[0,1,0] neg_lo:[0,0,1] neg_hi:[0,0,1]
	v_pk_fma_f16 v13, 0xbacd, v60, v13 op_sel:[0,0,1] op_sel_hi:[0,1,0]
	v_pk_add_f16 v27, v27, v135 op_sel:[0,1] op_sel_hi:[1,0]
	v_pk_add_f16 v14, v14, v135 op_sel:[0,1] op_sel_hi:[1,0]
	v_bfi_b32 v25, 0xffff, v26, v13
	s_delay_alu instid0(VALU_DEP_3)
	v_pk_add_f16 v27, v28, v27
	v_pk_fma_f16 v28, 0x39e9, v54, v15 op_sel:[0,0,1] op_sel_hi:[0,1,0] neg_lo:[0,0,1] neg_hi:[0,0,1]
	v_pk_fma_f16 v15, 0x39e9, v54, v15 op_sel:[0,0,1] op_sel_hi:[0,1,0]
	v_pk_add_f16 v14, v18, v14
	v_bfi_b32 v13, 0xffff, v13, v26
	v_pk_add_f16 v10, v25, v27
	v_pk_fma_f16 v25, 0xb8d2, v50, v29 op_sel:[0,0,1] op_sel_hi:[0,1,0] neg_lo:[0,0,1] neg_hi:[0,0,1]
	v_bfi_b32 v18, 0xffff, v28, v15
	v_pk_fma_f16 v26, 0xb8d2, v50, v29 op_sel:[0,0,1] op_sel_hi:[0,1,0]
	v_pk_add_f16 v13, v13, v14
	v_bfi_b32 v15, 0xffff, v15, v28
	v_pk_mul_f16 v27, 0xbbb2, v52 op_sel_hi:[0,1]
	v_pk_add_f16 v10, v18, v10
	v_bfi_b32 v14, 0xffff, v25, v26
	v_pk_fma_f16 v18, 0x3722, v48, v11 op_sel:[0,0,1] op_sel_hi:[0,1,0] neg_lo:[0,0,1] neg_hi:[0,0,1]
	v_pk_fma_f16 v11, 0x3722, v48, v11 op_sel:[0,0,1] op_sel_hi:[0,1,0]
	v_pk_add_f16 v13, v15, v13
	v_pk_mul_f16 v28, 0x3bf7, v59 op_sel_hi:[0,1]
	v_pk_add_f16 v10, v14, v10
	v_bfi_b32 v14, 0xffff, v26, v25
	v_bfi_b32 v15, 0xffff, v18, v11
	v_pk_fma_f16 v25, 0xb461, v51, v27 op_sel:[0,0,1] op_sel_hi:[0,1,0] neg_lo:[0,0,1] neg_hi:[0,0,1]
	v_pk_fma_f16 v26, 0xb461, v51, v27 op_sel:[0,0,1] op_sel_hi:[0,1,0]
	v_bfi_b32 v11, 0xffff, v11, v18
	v_pk_add_f16 v13, v14, v13
	v_pk_add_f16 v10, v15, v10
	v_pk_fma_f16 v15, 0x2de8, v58, v28 op_sel:[0,0,1] op_sel_hi:[0,1,0] neg_lo:[0,0,1] neg_hi:[0,0,1]
	v_bfi_b32 v14, 0xffff, v25, v26
	v_pk_fma_f16 v18, 0x2de8, v58, v28 op_sel:[0,0,1] op_sel_hi:[0,1,0]
	v_pk_add_f16 v11, v11, v13
	v_bfi_b32 v13, 0xffff, v26, v25
	v_lshlrev_b32_e32 v27, 2, v124
	v_pk_add_f16 v6, v14, v10
	v_bfi_b32 v9, 0xffff, v15, v18
	ds_store_b32 v27, v1
	ds_store_2addr_b32 v27, v0, v12 offset0:1 offset1:2
	ds_store_2addr_b32 v27, v8, v7 offset0:3 offset1:4
	;; [unrolled: 1-line block ×3, first 2 shown]
	v_pk_add_f16 v10, v13, v11
	v_bfi_b32 v11, 0xffff, v18, v15
	v_pk_add_f16 v0, v9, v6
	v_pack_b32_f16 v1, v4, v2
	v_perm_b32 v3, v222, v23, 0x5040100
	v_perm_b32 v4, v221, v21, 0x5040100
	v_pk_add_f16 v2, v11, v10
	v_perm_b32 v5, v129, v24, 0x5040100
	v_perm_b32 v6, v224, v19, 0x5040100
	;; [unrolled: 1-line block ×5, first 2 shown]
	ds_store_2addr_b32 v27, v1, v0 offset0:7 offset1:8
	ds_store_2addr_b32 v27, v2, v3 offset0:9 offset1:10
	;; [unrolled: 1-line block ×5, first 2 shown]
.LBB0_7:
	s_wait_alu 0xfffe
	s_or_b32 exec_lo, exec_lo, s2
	v_and_b32_e32 v0, 0xff, v57
	v_add_co_u32 v64, null, 0x66, v115
	v_add_co_u32 v63, null, 0x99, v115
	s_delay_alu instid0(VALU_DEP_3) | instskip(NEXT) | instid1(VALU_DEP_3)
	v_mul_lo_u16 v0, 0xf1, v0
	v_and_b32_e32 v8, 0xff, v64
	global_wb scope:SCOPE_SE
	s_wait_dscnt 0x0
	v_and_b32_e32 v3, 0xff, v63
	s_barrier_signal -1
	v_lshrrev_b16 v2, 12, v0
	v_and_b32_e32 v0, 0xff, v115
	v_mul_lo_u16 v4, 0xf1, v8
	v_mul_lo_u16 v3, 0xf1, v3
	s_barrier_wait -1
	v_mul_lo_u16 v1, v2, 17
	v_mul_lo_u16 v0, 0xf1, v0
	v_lshrrev_b16 v18, 12, v4
	v_lshrrev_b16 v53, 12, v3
	global_inv scope:SCOPE_SE
	v_sub_nc_u16 v1, v57, v1
	v_lshrrev_b16 v7, 12, v0
	v_mul_lo_u16 v3, v18, 17
	v_mul_lo_u16 v4, v53, 17
	v_add_nc_u32_e32 v74, 0x600, v88
	v_and_b32_e32 v15, 0xff, v1
	v_mul_lo_u16 v0, v7, 17
	v_add_nc_u32_e32 v71, 0xc00, v88
	v_add_nc_u32_e32 v75, 0x400, v88
	v_add_co_u32 v61, null, 0xff, v115
	v_lshlrev_b32_e32 v1, 3, v15
	v_sub_nc_u16 v9, v115, v0
	v_sub_nc_u16 v0, v64, v3
	v_add_co_u32 v60, null, 0x132, v115
	global_load_b64 v[178:179], v1, s[0:1]
	v_sub_nc_u16 v1, v63, v4
	v_lshlrev_b16 v3, 1, v9
	v_and_b32_e32 v54, 0xff, v0
	v_mad_u16 v7, v7, 51, v9
	v_and_b32_e32 v9, 0xffff, v60
	v_and_b32_e32 v55, 0xff, v1
	;; [unrolled: 1-line block ×3, first 2 shown]
	v_lshlrev_b32_e32 v1, 3, v54
	v_add_co_u32 v58, null, 0x165, v115
	s_delay_alu instid0(VALU_DEP_4) | instskip(NEXT) | instid1(VALU_DEP_4)
	v_lshlrev_b32_e32 v3, 3, v55
	v_lshlrev_b32_e32 v0, 2, v0
	s_clause 0x2
	global_load_b64 v[27:28], v1, s[0:1]
	global_load_b64 v[180:181], v3, s[0:1]
	;; [unrolled: 1-line block ×3, first 2 shown]
	ds_load_2addr_b32 v[3:4], v74 offset0:126 offset1:177
	ds_load_2addr_b32 v[0:1], v71 offset0:150 offset1:201
	ds_load_2addr_b32 v[5:6], v88 offset1:51
	v_add_co_u32 v62, null, 0xcc, v115
	v_mul_u32_u24_e32 v9, 0xf0f1, v9
	v_add_co_u32 v59, null, 0x198, v115
	v_add_nc_u32_e32 v76, 0xe00, v88
	v_add_nc_u32_e32 v78, 0x800, v88
	s_delay_alu instid0(VALU_DEP_4) | instskip(SKIP_2) | instid1(VALU_DEP_1)
	v_lshrrev_b32_e32 v83, 20, v9
	v_add_nc_u32_e32 v77, 0x1000, v88
	v_mul_lo_u16 v8, 0xa1, v8
	v_lshrrev_b16 v8, 13, v8
	s_wait_dscnt 0x2
	v_lshrrev_b32_e32 v10, 16, v3
	s_wait_dscnt 0x1
	v_lshrrev_b32_e32 v11, 16, v1
	;; [unrolled: 2-line block ×3, first 2 shown]
	v_mul_lo_u16 v8, v8, 51
	s_delay_alu instid0(VALU_DEP_1) | instskip(NEXT) | instid1(VALU_DEP_1)
	v_sub_nc_u16 v8, v64, v8
	v_and_b32_e32 v93, 0xff, v8
	s_delay_alu instid0(VALU_DEP_1) | instskip(SKIP_4) | instid1(VALU_DEP_2)
	v_lshlrev_b32_e32 v8, 5, v93
	v_lshlrev_b32_e32 v168, 2, v93
	s_wait_loadcnt 0x3
	v_lshrrev_b32_e32 v141, 16, v178
	v_lshrrev_b32_e32 v140, 16, v179
	v_mul_f16_e64 v12, v10, v141
	s_delay_alu instid0(VALU_DEP_2) | instskip(SKIP_2) | instid1(VALU_DEP_4)
	v_mul_f16_e64 v13, v11, v140
	v_mul_f16_e64 v14, v3, v141
	;; [unrolled: 1-line block ×3, first 2 shown]
	v_fma_f16 v3, v3, v178, -v12
	s_delay_alu instid0(VALU_DEP_4) | instskip(NEXT) | instid1(VALU_DEP_4)
	v_fma_f16 v65, v1, v179, -v13
	v_fmac_f16_e64 v14, v10, v178
	s_delay_alu instid0(VALU_DEP_4)
	v_fmac_f16_e64 v56, v11, v179
	v_lshrrev_b32_e32 v11, 16, v0
	s_wait_loadcnt 0x0
	v_lshrrev_b32_e32 v142, 16, v26
	v_add_f16_e32 v1, v3, v65
	v_lshrrev_b32_e32 v10, 16, v6
	v_add_f16_e32 v12, v14, v56
	v_add_f16_e32 v66, v6, v3
	v_sub_f16_e32 v3, v3, v65
	v_fmac_f16_e32 v6, -0.5, v1
	v_mul_f16_e64 v1, v11, v142
	v_add_f16_e32 v67, v10, v14
	v_fmac_f16_e32 v10, -0.5, v12
	v_sub_f16_e32 v12, v14, v56
	v_mul_f16_e64 v14, v0, v142
	v_fma_f16 v13, v0, v26, -v1
	ds_load_2addr_b32 v[0:1], v75 offset0:152 offset1:203
	v_fmamk_f16 v69, v3, 0xbaee, v10
	v_fmac_f16_e32 v10, 0x3aee, v3
	v_lshrrev_b32_e32 v143, 16, v25
	v_fmamk_f16 v68, v12, 0x3aee, v6
	v_fmac_f16_e32 v6, 0xbaee, v12
	v_fmac_f16_e32 v14, v11, v26
	v_and_b32_e32 v11, 0xffff, v59
	v_add_f16_e32 v56, v67, v56
	v_lshrrev_b32_e32 v145, 16, v181
	v_pack_b32_f16 v72, v6, v10
	v_lshrrev_b32_e32 v148, 16, v180
	v_mul_u32_u24_e32 v11, 0xf0f1, v11
	v_lshrrev_b32_e32 v147, 16, v27
	v_lshrrev_b32_e32 v146, 16, v28
	s_delay_alu instid0(VALU_DEP_3) | instskip(SKIP_2) | instid1(VALU_DEP_1)
	v_lshrrev_b32_e32 v85, 20, v11
	s_wait_dscnt 0x0
	v_lshrrev_b32_e32 v3, 16, v1
	v_mul_f16_e64 v12, v3, v143
	s_delay_alu instid0(VALU_DEP_1) | instskip(SKIP_1) | instid1(VALU_DEP_2)
	v_fma_f16 v12, v1, v25, -v12
	v_mul_f16_e64 v1, v1, v143
	v_add_f16_e32 v33, v12, v13
	s_delay_alu instid0(VALU_DEP_2) | instskip(SKIP_1) | instid1(VALU_DEP_3)
	v_fmac_f16_e32 v1, v3, v25
	v_sub_f16_e32 v3, v12, v13
	v_fma_f16 v70, -0.5, v33, v5
	v_add_f16_e32 v5, v5, v12
	s_delay_alu instid0(VALU_DEP_4) | instskip(SKIP_2) | instid1(VALU_DEP_4)
	v_add_f16_e32 v6, v73, v1
	v_add_f16_e32 v10, v1, v14
	v_sub_f16_e32 v1, v1, v14
	v_add_f16_e32 v5, v5, v13
	s_delay_alu instid0(VALU_DEP_4) | instskip(NEXT) | instid1(VALU_DEP_4)
	v_add_f16_e32 v6, v6, v14
	v_fmac_f16_e32 v73, -0.5, v10
	v_and_b32_e32 v10, 0xffff, v58
	s_delay_alu instid0(VALU_DEP_3) | instskip(SKIP_1) | instid1(VALU_DEP_4)
	v_pack_b32_f16 v79, v5, v6
	v_fmamk_f16 v5, v1, 0x3aee, v70
	v_fmamk_f16 v6, v3, 0xbaee, v73
	s_delay_alu instid0(VALU_DEP_4)
	v_mul_u32_u24_e32 v10, 0xf0f1, v10
	v_fmac_f16_e32 v70, 0xbaee, v1
	v_and_b32_e32 v1, 0xffff, v2
	v_fmac_f16_e32 v73, 0x3aee, v3
	v_pack_b32_f16 v80, v5, v6
	v_and_b32_e32 v6, 0xffff, v61
	v_and_b32_e32 v5, 0xff, v62
	v_lshrrev_b32_e32 v84, 20, v10
	v_mul_u32_u24_e32 v1, 51, v1
	v_pack_b32_f16 v2, v70, v73
	v_mul_u32_u24_e32 v6, 0xf0f1, v6
	v_mul_lo_u16 v5, 0xf1, v5
	v_pack_b32_f16 v3, v68, v69
	v_add_lshl_u32 v128, v1, v15, 2
	s_delay_alu instid0(VALU_DEP_4) | instskip(NEXT) | instid1(VALU_DEP_4)
	v_lshrrev_b32_e32 v82, 20, v6
	v_lshrrev_b16 v81, 12, v5
	s_delay_alu instid0(VALU_DEP_2) | instskip(NEXT) | instid1(VALU_DEP_2)
	v_mul_lo_u16 v6, v82, 17
	v_mul_lo_u16 v5, v81, 17
	s_delay_alu instid0(VALU_DEP_2) | instskip(SKIP_1) | instid1(VALU_DEP_3)
	v_sub_nc_u16 v86, v61, v6
	v_mul_lo_u16 v6, v83, 17
	v_sub_nc_u16 v5, v62, v5
	s_delay_alu instid0(VALU_DEP_2) | instskip(SKIP_1) | instid1(VALU_DEP_3)
	v_sub_nc_u16 v87, v60, v6
	v_mul_lo_u16 v6, v84, 17
	v_and_b32_e32 v91, 0xff, v5
	v_and_b32_e32 v5, 0xff, v7
	s_delay_alu instid0(VALU_DEP_4) | instskip(NEXT) | instid1(VALU_DEP_4)
	v_lshlrev_b16 v7, 1, v87
	v_sub_nc_u16 v89, v58, v6
	v_mul_lo_u16 v6, v85, 17
	s_delay_alu instid0(VALU_DEP_4) | instskip(NEXT) | instid1(VALU_DEP_4)
	v_lshlrev_b32_e32 v134, 2, v5
	v_and_b32_e32 v7, 0xffff, v7
	s_delay_alu instid0(VALU_DEP_4) | instskip(NEXT) | instid1(VALU_DEP_4)
	v_lshlrev_b16 v9, 1, v89
	v_sub_nc_u16 v90, v59, v6
	v_lshlrev_b16 v6, 1, v86
	s_delay_alu instid0(VALU_DEP_3) | instskip(NEXT) | instid1(VALU_DEP_3)
	v_and_b32_e32 v9, 0xffff, v9
	v_lshlrev_b16 v10, 1, v90
	s_delay_alu instid0(VALU_DEP_3) | instskip(NEXT) | instid1(VALU_DEP_2)
	v_and_b32_e32 v6, 0xffff, v6
	v_and_b32_e32 v10, 0xffff, v10
	s_delay_alu instid0(VALU_DEP_2) | instskip(SKIP_2) | instid1(VALU_DEP_4)
	v_lshlrev_b32_e32 v5, 2, v6
	v_lshlrev_b32_e32 v6, 2, v7
	;; [unrolled: 1-line block ×5, first 2 shown]
	s_clause 0x1
	global_load_b64 v[41:42], v10, s[0:1]
	global_load_b64 v[39:40], v5, s[0:1]
	ds_load_b32 v92, v88 offset:5304
	s_clause 0x2
	global_load_b64 v[37:38], v6, s[0:1]
	global_load_b64 v[35:36], v7, s[0:1]
	;; [unrolled: 1-line block ×3, first 2 shown]
	ds_load_2addr_b32 v[5:6], v88 offset0:102 offset1:153
	ds_load_2addr_b32 v[9:10], v88 offset0:204 offset1:255
	;; [unrolled: 1-line block ×9, first 2 shown]
	v_add_f16_e32 v7, v66, v65
	global_wb scope:SCOPE_SE
	s_wait_loadcnt_dscnt 0x0
	s_barrier_signal -1
	s_barrier_wait -1
	global_inv scope:SCOPE_SE
	v_pack_b32_f16 v1, v7, v56
	ds_store_2addr_b32 v134, v79, v80 offset1:17
	ds_store_b32 v134, v2 offset:136
	ds_store_2addr_b32 v128, v1, v3 offset1:17
	v_lshrrev_b32_e32 v1, 16, v4
	v_mul_f16_e64 v3, v4, v147
	v_lshrrev_b32_e32 v66, 16, v6
	v_lshrrev_b32_e32 v15, 16, v12
	v_mul_f16_e64 v65, v13, v148
	v_mul_f16_e64 v2, v1, v147
	v_fmac_f16_e32 v3, v1, v27
	s_delay_alu instid0(VALU_DEP_4) | instskip(NEXT) | instid1(VALU_DEP_3)
	v_mul_f16_e64 v56, v15, v145
	v_fma_f16 v2, v4, v27, -v2
	v_lshrrev_b32_e32 v4, 16, v11
	s_delay_alu instid0(VALU_DEP_3) | instskip(SKIP_1) | instid1(VALU_DEP_3)
	v_fma_f16 v56, v12, v181, -v56
	v_mul_f16_e64 v12, v12, v145
	v_mul_f16_e64 v7, v4, v146
	s_delay_alu instid0(VALU_DEP_2) | instskip(SKIP_1) | instid1(VALU_DEP_3)
	v_fmac_f16_e64 v12, v15, v181
	v_lshrrev_b32_e32 v15, 16, v13
	v_fma_f16 v7, v11, v28, -v7
	v_mul_f16_e64 v11, v11, v146
	s_delay_alu instid0(VALU_DEP_3) | instskip(SKIP_1) | instid1(VALU_DEP_3)
	v_fmac_f16_e64 v65, v15, v180
	v_mul_f16_e64 v15, v15, v148
	v_fmac_f16_e32 v11, v4, v28
	v_sub_f16_e32 v1, v2, v7
	s_delay_alu instid0(VALU_DEP_4) | instskip(NEXT) | instid1(VALU_DEP_4)
	v_add_f16_e32 v68, v66, v65
	v_fma_f16 v13, v13, v180, -v15
	s_delay_alu instid0(VALU_DEP_1) | instskip(SKIP_2) | instid1(VALU_DEP_3)
	v_add_f16_e32 v15, v13, v56
	v_add_f16_e32 v67, v6, v13
	v_sub_f16_e32 v13, v13, v56
	v_fmac_f16_e32 v6, -0.5, v15
	v_add_f16_e32 v15, v65, v12
	s_delay_alu instid0(VALU_DEP_1) | instskip(SKIP_1) | instid1(VALU_DEP_1)
	v_fmac_f16_e32 v66, -0.5, v15
	v_sub_f16_e32 v15, v65, v12
	v_fmamk_f16 v65, v15, 0x3aee, v6
	v_fmac_f16_e32 v6, 0xbaee, v15
	s_delay_alu instid0(VALU_DEP_4) | instskip(SKIP_2) | instid1(VALU_DEP_2)
	v_fmamk_f16 v15, v13, 0xbaee, v66
	v_fmac_f16_e32 v66, 0x3aee, v13
	v_add_f16_e32 v13, v2, v7
	v_pack_b32_f16 v6, v6, v66
	s_delay_alu instid0(VALU_DEP_2) | instskip(SKIP_2) | instid1(VALU_DEP_2)
	v_fma_f16 v13, -0.5, v13, v5
	v_lshrrev_b32_e32 v66, 16, v5
	v_add_f16_e32 v5, v5, v2
	v_add_f16_e32 v4, v66, v3
	s_delay_alu instid0(VALU_DEP_2) | instskip(SKIP_2) | instid1(VALU_DEP_4)
	v_add_f16_e32 v2, v5, v7
	v_add_f16_e32 v5, v3, v11
	v_sub_f16_e32 v3, v3, v11
	v_add_f16_e32 v4, v4, v11
	s_delay_alu instid0(VALU_DEP_3) | instskip(SKIP_1) | instid1(VALU_DEP_3)
	v_fmac_f16_e32 v66, -0.5, v5
	v_and_b32_e32 v5, 0xffff, v18
	v_pack_b32_f16 v2, v2, v4
	v_fmamk_f16 v4, v3, 0x3aee, v13
	v_fmac_f16_e32 v13, 0xbaee, v3
	s_delay_alu instid0(VALU_DEP_4) | instskip(SKIP_2) | instid1(VALU_DEP_3)
	v_mul_u32_u24_e32 v5, 51, v5
	v_pack_b32_f16 v3, v65, v15
	v_lshrrev_b32_e32 v15, 16, v47
	v_add_lshl_u32 v136, v5, v54, 2
	v_fmamk_f16 v5, v1, 0xbaee, v66
	v_fmac_f16_e32 v66, 0x3aee, v1
	v_and_b32_e32 v1, 0xffff, v53
	s_delay_alu instid0(VALU_DEP_3)
	v_pack_b32_f16 v4, v4, v5
	ds_store_b32 v128, v72 offset:136
	ds_store_2addr_b32 v136, v2, v4 offset1:17
	v_add_f16_e32 v2, v67, v56
	v_add_f16_e32 v4, v68, v12
	v_mul_u32_u24_e32 v1, 51, v1
	v_lshrrev_b32_e32 v5, 16, v9
	s_delay_alu instid0(VALU_DEP_2) | instskip(NEXT) | instid1(VALU_DEP_4)
	v_add_lshl_u32 v137, v1, v55, 2
	v_pack_b32_f16 v1, v2, v4
	v_pack_b32_f16 v2, v13, v66
	v_and_b32_e32 v4, 0xffff, v81
	ds_store_b32 v136, v2 offset:136
	ds_store_2addr_b32 v137, v1, v3 offset1:17
	v_lshrrev_b32_e32 v1, 16, v14
	v_mul_u32_u24_e32 v4, 51, v4
	s_delay_alu instid0(VALU_DEP_1)
	v_add_lshl_u32 v130, v4, v91, 2
	v_lshrrev_b32_e32 v152, 16, v41
	v_lshrrev_b32_e32 v153, 16, v42
	;; [unrolled: 1-line block ×5, first 2 shown]
	v_mul_f16_e64 v3, v14, v152
	v_mul_f16_e64 v2, v1, v152
	;; [unrolled: 1-line block ×3, first 2 shown]
	v_lshrrev_b32_e32 v201, 16, v37
	v_lshrrev_b32_e32 v195, 16, v38
	v_fmac_f16_e32 v3, v1, v41
	v_lshrrev_b32_e32 v1, 16, v43
	v_fma_f16 v2, v14, v41, -v2
	v_lshrrev_b32_e32 v204, 16, v34
	s_delay_alu instid0(VALU_DEP_4) | instskip(NEXT) | instid1(VALU_DEP_4)
	v_add_f16_e32 v7, v5, v3
	v_fmac_f16_e32 v4, v1, v42
	v_mul_f16_e64 v1, v1, v153
	s_delay_alu instid0(VALU_DEP_2) | instskip(NEXT) | instid1(VALU_DEP_2)
	v_sub_f16_e32 v11, v3, v4
	v_fma_f16 v1, v43, v42, -v1
	v_add_f16_e32 v3, v3, v4
	v_add_f16_e32 v4, v7, v4
	;; [unrolled: 1-line block ×3, first 2 shown]
	s_delay_alu instid0(VALU_DEP_4) | instskip(NEXT) | instid1(VALU_DEP_4)
	v_add_f16_e32 v12, v2, v1
	v_fmac_f16_e32 v5, -0.5, v3
	s_delay_alu instid0(VALU_DEP_3) | instskip(SKIP_1) | instid1(VALU_DEP_4)
	v_add_f16_e32 v7, v7, v1
	v_sub_f16_e32 v1, v2, v1
	v_fma_f16 v3, -0.5, v12, v9
	v_lshrrev_b32_e32 v12, 16, v10
	s_delay_alu instid0(VALU_DEP_4) | instskip(NEXT) | instid1(VALU_DEP_4)
	v_pack_b32_f16 v2, v7, v4
	v_fmamk_f16 v7, v1, 0xbaee, v5
	s_delay_alu instid0(VALU_DEP_4) | instskip(SKIP_3) | instid1(VALU_DEP_4)
	v_fmamk_f16 v4, v11, 0x3aee, v3
	v_fmac_f16_e32 v3, 0xbaee, v11
	v_fmac_f16_e32 v5, 0x3aee, v1
	v_mul_f16_e64 v11, v50, v157
	v_pack_b32_f16 v4, v4, v7
	ds_store_b32 v137, v6 offset:136
	ds_store_2addr_b32 v130, v2, v4 offset1:17
	v_lshrrev_b32_e32 v2, 16, v44
	v_mul_f16_e64 v6, v44, v155
	v_mul_f16_e64 v7, v45, v156
	v_pack_b32_f16 v3, v3, v5
	v_mad_u16 v5, v82, 51, v86
	v_mul_f16_e64 v4, v2, v155
	v_fmac_f16_e32 v6, v2, v40
	v_lshrrev_b32_e32 v2, 16, v45
	ds_store_b32 v130, v3 offset:136
	v_and_b32_e32 v3, 0xffff, v5
	v_fma_f16 v4, v44, v40, -v4
	v_lshrrev_b32_e32 v5, 16, v49
	v_fmac_f16_e32 v7, v2, v39
	v_mul_f16_e64 v2, v2, v156
	v_lshlrev_b32_e32 v139, 2, v3
	s_delay_alu instid0(VALU_DEP_3) | instskip(NEXT) | instid1(VALU_DEP_3)
	v_add_f16_e32 v14, v12, v7
	v_fma_f16 v2, v45, v39, -v2
	s_delay_alu instid0(VALU_DEP_1) | instskip(SKIP_2) | instid1(VALU_DEP_3)
	v_add_f16_e32 v9, v2, v4
	v_add_f16_e32 v13, v10, v2
	v_sub_f16_e32 v2, v2, v4
	v_fmac_f16_e32 v10, -0.5, v9
	v_add_f16_e32 v9, v7, v6
	v_sub_f16_e32 v7, v7, v6
	v_add_f16_e32 v1, v13, v4
	v_add_f16_e32 v4, v14, v6
	v_mul_f16_e64 v6, v5, v195
	v_fmac_f16_e32 v12, -0.5, v9
	v_fmamk_f16 v9, v7, 0x3aee, v10
	v_fmac_f16_e32 v10, 0xbaee, v7
	v_pack_b32_f16 v1, v1, v4
	v_fma_f16 v6, v49, v38, -v6
	v_fmamk_f16 v7, v2, 0xbaee, v12
	v_fmac_f16_e32 v12, 0x3aee, v2
	s_delay_alu instid0(VALU_DEP_2) | instskip(SKIP_1) | instid1(VALU_DEP_3)
	v_pack_b32_f16 v4, v9, v7
	v_lshrrev_b32_e32 v7, 16, v50
	v_pack_b32_f16 v2, v10, v12
	v_mul_f16_e64 v10, v49, v195
	v_lshrrev_b32_e32 v12, 16, v48
	ds_store_2addr_b32 v139, v1, v4 offset1:17
	v_lshrrev_b32_e32 v1, 16, v46
	v_mul_f16_e64 v4, v46, v201
	v_mul_f16_e64 v9, v7, v157
	v_fmac_f16_e32 v11, v7, v36
	v_lshrrev_b32_e32 v7, 16, v35
	v_mul_f16_e64 v3, v1, v201
	v_fmac_f16_e32 v4, v1, v37
	v_fmac_f16_e32 v10, v5, v38
	v_lshrrev_b32_e32 v1, 16, v51
	v_mul_f16_e32 v5, v51, v7
	v_fma_f16 v9, v50, v36, -v9
	scratch_store_b32 off, v7, off offset:120 ; 4-byte Folded Spill
	v_fma_f16 v3, v46, v37, -v3
	v_add_f16_e32 v43, v15, v4
	v_fmac_f16_e32 v5, v1, v35
	v_mul_f16_e32 v1, v1, v7
	v_add_f16_e32 v44, v4, v10
	v_add_f16_e32 v18, v47, v3
	v_sub_f16_e32 v4, v4, v10
	v_add_f16_e32 v14, v12, v5
	v_fma_f16 v1, v51, v35, -v1
	v_add_f16_e32 v10, v43, v10
	v_add_f16_e32 v18, v18, v6
	v_fmac_f16_e32 v15, -0.5, v44
	ds_store_b32 v139, v2 offset:136
	v_add_f16_e32 v7, v1, v9
	v_add_f16_e32 v13, v48, v1
	v_sub_f16_e32 v1, v1, v9
	v_pack_b32_f16 v10, v18, v10
	v_lshrrev_b32_e32 v44, 16, v0
	v_fmac_f16_e32 v48, -0.5, v7
	v_add_f16_e32 v7, v5, v11
	v_sub_f16_e32 v5, v5, v11
	s_delay_alu instid0(VALU_DEP_2) | instskip(NEXT) | instid1(VALU_DEP_2)
	v_fmac_f16_e32 v12, -0.5, v7
	v_fmamk_f16 v7, v5, 0x3aee, v48
	v_fmac_f16_e32 v48, 0xbaee, v5
	s_delay_alu instid0(VALU_DEP_3) | instskip(SKIP_4) | instid1(VALU_DEP_4)
	v_fmamk_f16 v5, v1, 0xbaee, v12
	v_fmac_f16_e32 v12, 0x3aee, v1
	v_add_f16_e32 v1, v3, v6
	v_sub_f16_e32 v3, v3, v6
	v_mad_u16 v6, v83, 51, v87
	v_pack_b32_f16 v12, v48, v12
	s_delay_alu instid0(VALU_DEP_4) | instskip(NEXT) | instid1(VALU_DEP_4)
	v_fma_f16 v1, -0.5, v1, v47
	v_fmamk_f16 v43, v3, 0xbaee, v15
	s_delay_alu instid0(VALU_DEP_4)
	v_and_b32_e32 v2, 0xffff, v6
	v_fmac_f16_e32 v15, 0x3aee, v3
	v_add_f16_e32 v3, v14, v11
	v_fmamk_f16 v18, v4, 0x3aee, v1
	v_fmac_f16_e32 v1, 0xbaee, v4
	v_lshlrev_b32_e32 v144, 2, v2
	v_lshrrev_b32_e32 v2, 16, v52
	v_mad_u16 v4, v84, 51, v89
	v_pack_b32_f16 v18, v18, v43
	v_mul_f16_e64 v43, v92, v204
	v_pack_b32_f16 v1, v1, v15
	ds_store_2addr_b32 v144, v10, v18 offset1:17
	v_lshrrev_b32_e32 v10, 16, v33
	ds_store_b32 v144, v1 offset:136
	v_mul_f16_e32 v6, v2, v10
	scratch_store_b32 off, v10, off offset:124 ; 4-byte Folded Spill
	v_mul_f16_e32 v10, v52, v10
	v_fma_f16 v6, v52, v33, -v6
	s_delay_alu instid0(VALU_DEP_2) | instskip(SKIP_1) | instid1(VALU_DEP_3)
	v_fmac_f16_e32 v10, v2, v33
	v_lshrrev_b32_e32 v2, 16, v92
	v_add_f16_e32 v45, v0, v6
	s_delay_alu instid0(VALU_DEP_3) | instskip(NEXT) | instid1(VALU_DEP_3)
	v_add_f16_e32 v46, v44, v10
	v_mul_f16_e64 v18, v2, v204
	v_fmac_f16_e32 v43, v2, v34
	s_delay_alu instid0(VALU_DEP_2) | instskip(NEXT) | instid1(VALU_DEP_1)
	v_fma_f16 v18, v92, v34, -v18
	v_add_f16_e32 v2, v6, v18
	s_delay_alu instid0(VALU_DEP_1) | instskip(NEXT) | instid1(VALU_DEP_4)
	v_fmac_f16_e32 v0, -0.5, v2
	v_add_f16_e32 v2, v10, v43
	s_delay_alu instid0(VALU_DEP_1) | instskip(SKIP_1) | instid1(VALU_DEP_1)
	v_fmac_f16_e32 v44, -0.5, v2
	v_sub_f16_e32 v2, v10, v43
	v_fmamk_f16 v10, v2, 0x3aee, v0
	v_fmac_f16_e32 v0, 0xbaee, v2
	v_sub_f16_e32 v2, v6, v18
	s_delay_alu instid0(VALU_DEP_1) | instskip(SKIP_2) | instid1(VALU_DEP_2)
	v_fmamk_f16 v6, v2, 0xbaee, v44
	v_fmac_f16_e32 v44, 0x3aee, v2
	v_add_f16_e32 v2, v13, v9
	v_pack_b32_f16 v0, v0, v44
	s_delay_alu instid0(VALU_DEP_2) | instskip(SKIP_3) | instid1(VALU_DEP_3)
	v_pack_b32_f16 v1, v2, v3
	v_and_b32_e32 v3, 0xffff, v4
	v_pack_b32_f16 v2, v7, v5
	v_lshlrev_b32_e32 v4, 5, v115
	v_lshlrev_b32_e32 v149, 2, v3
	v_mad_u16 v3, v85, 51, v90
	ds_store_2addr_b32 v149, v1, v2 offset1:17
	v_add_f16_e32 v1, v45, v18
	v_add_f16_e32 v2, v46, v43
	v_and_b32_e32 v3, 0xffff, v3
	ds_store_b32 v149, v12 offset:136
	v_pack_b32_f16 v1, v1, v2
	v_pack_b32_f16 v2, v10, v6
	v_lshlrev_b32_e32 v151, 2, v3
	ds_store_2addr_b32 v151, v1, v2 offset1:17
	ds_store_b32 v151, v0 offset:136
	global_wb scope:SCOPE_SE
	s_wait_storecnt_dscnt 0x0
	s_barrier_signal -1
	s_barrier_wait -1
	global_inv scope:SCOPE_SE
	s_clause 0x1
	global_load_b128 v[0:3], v4, s[0:1] offset:136
	global_load_b128 v[4:7], v4, s[0:1] offset:152
	ds_load_2addr_b32 v[43:44], v88 offset0:102 offset1:153
	ds_load_2addr_b32 v[47:48], v77 offset0:200 offset1:251
	;; [unrolled: 1-line block ×5, first 2 shown]
	ds_load_2addr_b32 v[55:56], v88 offset1:51
	s_wait_dscnt 0x5
	v_lshrrev_b32_e32 v9, 16, v44
	s_wait_dscnt 0x4
	v_lshrrev_b32_e32 v11, 16, v47
	v_lshrrev_b32_e32 v108, 16, v48
	s_wait_dscnt 0x2
	v_lshrrev_b32_e32 v106, 16, v52
	s_wait_dscnt 0x1
	;; [unrolled: 2-line block ×3, first 2 shown]
	v_lshrrev_b32_e32 v81, 16, v55
	v_lshrrev_b32_e32 v116, 16, v56
	s_wait_loadcnt 0x1
	v_lshrrev_b32_e32 v154, 16, v0
	s_wait_loadcnt 0x0
	v_lshrrev_b32_e32 v150, 16, v7
	v_lshrrev_b32_e32 v158, 16, v6
	;; [unrolled: 1-line block ×4, first 2 shown]
	v_mul_f16_e64 v10, v44, v154
	v_mul_f16_e64 v12, v47, v150
	v_lshrrev_b32_e32 v198, 16, v5
	v_lshrrev_b32_e32 v161, 16, v3
	v_lshrrev_b32_e32 v166, 16, v4
	v_fmac_f16_e32 v10, v9, v0
	v_mul_f16_e64 v9, v9, v154
	v_fmac_f16_e32 v12, v11, v7
	v_mul_f16_e64 v11, v11, v150
	v_mul_f16_e64 v105, v104, v161
	;; [unrolled: 1-line block ×3, first 2 shown]
	v_fma_f16 v9, v44, v0, -v9
	ds_load_2addr_b32 v[44:45], v76 offset0:124 offset1:175
	v_fma_f16 v11, v47, v7, -v11
	v_add_f16_e32 v66, v10, v12
	v_sub_f16_e32 v68, v10, v12
	v_mul_f16_e64 v10, v49, v162
	v_fma_f16 v105, v54, v3, -v105
	v_add_f16_e32 v65, v9, v11
	v_sub_f16_e32 v67, v9, v11
	v_lshrrev_b32_e32 v9, 16, v49
	v_mul_f16_e32 v92, 0x3924, v68
	v_mul_f16_e64 v54, v54, v161
	v_mul_f16_e64 v107, v106, v198
	v_mul_f16_e32 v91, 0x3924, v67
	v_fmac_f16_e32 v10, v9, v1
	v_mul_f16_e64 v9, v9, v162
	v_fma_f16 v109, v48, v7, -v109
	v_mul_f16_e64 v48, v48, v150
	v_fmac_f16_e32 v54, v104, v3
	v_fma_f16 v107, v52, v5, -v107
	v_fma_f16 v9, v49, v1, -v9
	s_wait_dscnt 0x0
	v_lshrrev_b32_e32 v11, 16, v45
	v_mul_f16_e64 v12, v45, v158
	v_mul_f16_e64 v52, v52, v198
	v_fmac_f16_e32 v48, v108, v7
	s_delay_alu instid0(VALU_DEP_3) | instskip(SKIP_1) | instid1(VALU_DEP_4)
	v_fmac_f16_e32 v12, v11, v6
	v_mul_f16_e64 v11, v11, v158
	v_fmac_f16_e32 v52, v106, v5
	s_delay_alu instid0(VALU_DEP_3) | instskip(NEXT) | instid1(VALU_DEP_3)
	v_add_f16_e32 v69, v10, v12
	v_fma_f16 v11, v45, v6, -v11
	ds_load_2addr_b32 v[45:46], v75 offset0:152 offset1:203
	v_sub_f16_e32 v49, v10, v12
	v_mul_f16_e64 v12, v51, v198
	v_add_f16_e32 v89, v69, v66
	v_add_f16_e32 v72, v9, v11
	v_sub_f16_e32 v70, v9, v11
	v_lshrrev_b32_e32 v11, 16, v51
	v_fmac_f16_e32 v92, 0x3be1, v49
	s_delay_alu instid0(VALU_DEP_4) | instskip(NEXT) | instid1(VALU_DEP_4)
	v_add_f16_e32 v18, v72, v65
	v_fmac_f16_e32 v91, 0x3be1, v70
	s_delay_alu instid0(VALU_DEP_4) | instskip(SKIP_1) | instid1(VALU_DEP_1)
	v_fmac_f16_e32 v12, v11, v5
	v_mul_f16_e64 v11, v11, v198
	v_fma_f16 v11, v51, v5, -v11
	s_wait_dscnt 0x0
	v_lshrrev_b32_e32 v9, 16, v46
	v_mul_f16_e64 v10, v46, v164
	s_delay_alu instid0(VALU_DEP_1) | instskip(SKIP_1) | instid1(VALU_DEP_2)
	v_fmac_f16_e32 v10, v9, v2
	v_mul_f16_e64 v9, v9, v164
	v_add_f16_e32 v73, v10, v12
	s_delay_alu instid0(VALU_DEP_2)
	v_fma_f16 v9, v46, v2, -v9
	ds_load_2addr_b32 v[46:47], v78 offset0:202 offset1:253
	v_sub_f16_e32 v80, v10, v12
	v_mul_f16_e64 v10, v53, v161
	ds_load_b32 v96, v88 offset:5304
	ds_load_2addr_b32 v[84:85], v88 offset0:204 offset1:255
	ds_load_2addr_b32 v[86:87], v74 offset0:126 offset1:177
	;; [unrolled: 1-line block ×4, first 2 shown]
	v_add_f16_e32 v51, v9, v11
	v_sub_f16_e32 v79, v9, v11
	v_lshrrev_b32_e32 v9, 16, v53
	v_fmac_f16_e32 v92, 0x3aee, v80
	s_delay_alu instid0(VALU_DEP_4) | instskip(NEXT) | instid1(VALU_DEP_4)
	v_add_f16_e32 v13, v51, v18
	v_fmac_f16_e32 v91, 0x3aee, v79
	s_delay_alu instid0(VALU_DEP_4) | instskip(SKIP_1) | instid1(VALU_DEP_1)
	v_fmac_f16_e32 v10, v9, v3
	v_mul_f16_e64 v9, v9, v161
	v_fma_f16 v9, v53, v3, -v9
	s_wait_dscnt 0x5
	v_lshrrev_b32_e32 v11, 16, v47
	v_mul_f16_e64 v12, v47, v166
	s_delay_alu instid0(VALU_DEP_3)
	v_add_f16_e32 v13, v9, v13
	s_wait_dscnt 0x3
	v_mul_f16_e64 v104, v84, v154
	s_wait_dscnt 0x0
	v_mul_f16_e64 v108, v173, v158
	v_mul_f16_e64 v110, v86, v164
	v_fmac_f16_e32 v12, v11, v4
	v_mul_f16_e64 v11, v11, v166
	v_mul_f16_e64 v111, v169, v166
	s_delay_alu instid0(VALU_DEP_3) | instskip(NEXT) | instid1(VALU_DEP_3)
	v_sub_f16_e32 v83, v10, v12
	v_fma_f16 v11, v47, v4, -v11
	v_add_f16_e32 v82, v10, v12
	s_delay_alu instid0(VALU_DEP_3) | instskip(NEXT) | instid1(VALU_DEP_3)
	v_fmac_f16_e32 v92, 0x3579, v83
	v_sub_f16_e32 v53, v9, v11
	v_add_f16_e32 v47, v9, v11
	v_add_f16_e32 v9, v11, v13
	;; [unrolled: 1-line block ×3, first 2 shown]
	v_fmamk_f16 v99, v82, 0x3a21, v81
	v_fmac_f16_e32 v91, 0x3579, v53
	v_add_f16_e32 v18, v47, v18
	v_add_f16_e32 v9, v9, v55
	;; [unrolled: 1-line block ×3, first 2 shown]
	v_fmamk_f16 v98, v47, 0x3a21, v55
	v_fmac_f16_e32 v99, 0x318f, v66
	v_add_f16_e32 v100, v53, v67
	v_add_f16_e32 v101, v83, v68
	;; [unrolled: 1-line block ×3, first 2 shown]
	v_fmac_f16_e32 v98, 0x318f, v65
	v_fmac_f16_e32 v99, -0.5, v73
	v_sub_f16_e32 v100, v100, v70
	v_sub_f16_e32 v101, v101, v49
	v_add_f16_e32 v10, v10, v81
	v_fmac_f16_e32 v98, -0.5, v51
	v_fmac_f16_e32 v99, 0xbb84, v69
	s_delay_alu instid0(VALU_DEP_3) | instskip(SKIP_3) | instid1(VALU_DEP_3)
	v_pack_b32_f16 v90, v9, v10
	v_fmamk_f16 v9, v65, 0x3a21, v55
	v_fmamk_f16 v10, v66, 0x3a21, v81
	v_fmac_f16_e32 v98, 0xbb84, v72
	v_fmac_f16_e32 v9, 0x318f, v72
	s_delay_alu instid0(VALU_DEP_3) | instskip(NEXT) | instid1(VALU_DEP_2)
	v_fmac_f16_e32 v10, 0x318f, v69
	v_fmac_f16_e32 v9, -0.5, v51
	s_delay_alu instid0(VALU_DEP_2) | instskip(NEXT) | instid1(VALU_DEP_2)
	v_fmac_f16_e32 v10, -0.5, v73
	v_fmac_f16_e32 v9, 0xbb84, v47
	s_delay_alu instid0(VALU_DEP_2) | instskip(NEXT) | instid1(VALU_DEP_2)
	v_fmac_f16_e32 v10, 0xbb84, v82
	v_add_f16_e32 v94, v92, v9
	s_delay_alu instid0(VALU_DEP_2)
	v_sub_f16_e32 v95, v10, v91
	s_clause 0x1
	global_load_b128 v[12:15], v8, s[0:1] offset:136
	global_load_b128 v[8:11], v8, s[0:1] offset:152
	global_wb scope:SCOPE_SE
	s_wait_loadcnt 0x0
	s_barrier_signal -1
	s_barrier_wait -1
	v_pack_b32_f16 v97, v94, v95
	global_inv scope:SCOPE_SE
	v_fma_f16 v92, -2.0, v92, v94
	v_fma_f16 v91, 2.0, v91, v95
	ds_store_2addr_b32 v88, v90, v97 offset1:51
	v_add_f16_e32 v90, v51, v55
	v_mul_f16_e32 v97, 0xb924, v83
	s_delay_alu instid0(VALU_DEP_2) | instskip(SKIP_2) | instid1(VALU_DEP_4)
	v_fmac_f16_e32 v90, -0.5, v18
	v_add_f16_e32 v18, v82, v89
	v_add_f16_e32 v89, v73, v81
	v_fmac_f16_e32 v97, 0x3be1, v68
	v_fmac_f16_e32 v81, 0x3a21, v69
	;; [unrolled: 1-line block ×3, first 2 shown]
	v_mul_f16_e32 v101, 0x3aee, v101
	v_fmac_f16_e32 v89, -0.5, v18
	v_mul_f16_e32 v18, 0xb924, v53
	v_fmac_f16_e32 v97, 0xbaee, v80
	v_mul_f16_e32 v53, 0x3be1, v53
	v_fmac_f16_e32 v81, 0x318f, v82
	v_fmac_f16_e32 v89, 0xbaee, v100
	;; [unrolled: 1-line block ×4, first 2 shown]
	v_mul_f16_e32 v100, 0x3aee, v100
	v_fma_f16 v53, v70, 0xb924, -v53
	v_pack_b32_f16 v102, v90, v89
	v_fmac_f16_e32 v18, 0xbaee, v79
	v_add_f16_e32 v98, v97, v98
	v_fma_f16 v90, -2.0, v101, v90
	v_fma_f16 v89, 2.0, v100, v89
	v_fmac_f16_e32 v53, 0x3aee, v79
	v_fmac_f16_e32 v18, 0x3579, v70
	v_fma_f16 v97, -2.0, v97, v98
	v_fmac_f16_e32 v81, -0.5, v73
	v_pack_b32_f16 v89, v90, v89
	v_fmac_f16_e32 v53, 0x3579, v67
	v_sub_f16_e32 v99, v99, v18
	v_lshrrev_b32_e32 v67, 16, v44
	v_fmac_f16_e32 v81, 0xbb84, v66
	v_lshrrev_b32_e32 v69, 16, v174
	v_add_nc_u32_e32 v82, 0xc00, v168
	v_pack_b32_f16 v103, v98, v99
	v_fma_f16 v18, 2.0, v18, v99
	ds_store_2addr_b32 v88, v103, v102 offset0:102 offset1:153
	v_lshrrev_b32_e32 v102, 16, v50
	v_pack_b32_f16 v18, v97, v18
	s_delay_alu instid0(VALU_DEP_2) | instskip(SKIP_3) | instid1(VALU_DEP_1)
	v_mul_f16_e64 v103, v102, v162
	ds_store_2addr_b32 v75, v89, v18 offset0:50 offset1:101
	v_fma_f16 v103, v50, v1, -v103
	v_mul_f16_e64 v50, v50, v162
	v_fmac_f16_e32 v50, v102, v1
	v_lshrrev_b32_e32 v102, 16, v84
	s_delay_alu instid0(VALU_DEP_1) | instskip(SKIP_1) | instid1(VALU_DEP_2)
	v_fmac_f16_e32 v104, v102, v0
	v_mul_f16_e64 v102, v102, v154
	v_add_f16_e32 v106, v104, v48
	v_sub_f16_e32 v48, v104, v48
	v_lshrrev_b32_e32 v104, 16, v173
	s_delay_alu instid0(VALU_DEP_4) | instskip(NEXT) | instid1(VALU_DEP_4)
	v_fma_f16 v84, v84, v0, -v102
	v_fmamk_f16 v118, v106, 0x3a21, v116
	s_delay_alu instid0(VALU_DEP_4) | instskip(NEXT) | instid1(VALU_DEP_4)
	v_mul_f16_e32 v113, 0x3924, v48
	v_fmac_f16_e32 v108, v104, v6
	v_mul_f16_e64 v104, v104, v158
	v_add_f16_e32 v102, v84, v109
	v_sub_f16_e32 v84, v84, v109
	s_delay_alu instid0(VALU_DEP_3) | instskip(NEXT) | instid1(VALU_DEP_3)
	v_fma_f16 v104, v173, v6, -v104
	v_fmamk_f16 v114, v102, 0x3a21, v56
	s_delay_alu instid0(VALU_DEP_3) | instskip(NEXT) | instid1(VALU_DEP_3)
	v_mul_f16_e32 v112, 0x3924, v84
	v_add_f16_e32 v109, v103, v104
	v_sub_f16_e32 v103, v103, v104
	v_add_f16_e32 v104, v50, v108
	v_sub_f16_e32 v50, v50, v108
	v_lshrrev_b32_e32 v108, 16, v86
	v_add_f16_e32 v18, v109, v102
	v_fmac_f16_e32 v112, 0x3be1, v103
	v_add_f16_e32 v90, v104, v106
	v_fmac_f16_e32 v113, 0x3be1, v50
	v_fmac_f16_e32 v110, v108, v2
	v_mul_f16_e64 v108, v108, v164
	v_fmac_f16_e32 v114, 0x318f, v109
	v_fmac_f16_e32 v118, 0x318f, v104
	s_delay_alu instid0(VALU_DEP_3) | instskip(NEXT) | instid1(VALU_DEP_1)
	v_fma_f16 v86, v86, v2, -v108
	v_add_f16_e32 v108, v86, v107
	v_sub_f16_e32 v86, v86, v107
	v_add_f16_e32 v107, v110, v52
	v_sub_f16_e32 v52, v110, v52
	v_lshrrev_b32_e32 v110, 16, v169
	v_add_f16_e32 v89, v108, v18
	v_fmac_f16_e32 v112, 0x3aee, v86
	v_add_f16_e32 v97, v107, v90
	v_fmac_f16_e32 v113, 0x3aee, v52
	v_fmac_f16_e32 v111, v110, v4
	v_mul_f16_e64 v110, v110, v166
	v_add_f16_e32 v89, v105, v89
	v_fmac_f16_e32 v114, -0.5, v108
	v_fmac_f16_e32 v118, -0.5, v107
	v_sub_f16_e32 v123, v54, v111
	v_fma_f16 v110, v169, v4, -v110
	v_add_f16_e64 v173, v54, v111
	v_add_f16_e32 v54, v54, v97
	s_delay_alu instid0(VALU_DEP_4) | instskip(NEXT) | instid1(VALU_DEP_4)
	v_mul_f16_e64 v169, 0xb924, v123
	v_sub_f16_e32 v121, v105, v110
	v_add_f16_e64 v171, v105, v110
	v_fma_f16 v175, 0x3a21, v173, v116
	v_add_f16_e32 v89, v110, v89
	v_fmac_f16_e64 v169, 0x3be1, v48
	v_mul_f16_e32 v122, 0xb924, v121
	v_fma_f16 v172, 0x3a21, v171, v56
	v_fmac_f16_e64 v175, 0x318f, v106
	v_add_f16_e32 v54, v111, v54
	v_fmac_f16_e64 v169, 0xbaee, v52
	v_fmac_f16_e32 v122, 0x3be1, v84
	v_fmac_f16_e64 v172, 0x318f, v102
	v_fmac_f16_e64 v175, -0.5, v107
	v_fmac_f16_e32 v112, 0x3579, v121
	v_fmac_f16_e32 v113, 0x3579, v123
	;; [unrolled: 1-line block ×3, first 2 shown]
	v_fmac_f16_e64 v172, -0.5, v108
	v_fmac_f16_e64 v114, 0xbb84, v171
	v_fmac_f16_e64 v118, 0xbb84, v173
	v_fmac_f16_e64 v169, 0x3579, v50
	v_fmac_f16_e32 v122, 0x3579, v103
	v_fmac_f16_e64 v172, 0xbb84, v109
	v_fmac_f16_e64 v175, 0xbb84, v104
	v_add_f16_e32 v89, v89, v56
	v_add_f16_e32 v54, v54, v116
	;; [unrolled: 1-line block ×3, first 2 shown]
	v_sub_f16_e32 v118, v118, v112
	v_add_f16_e64 v172, v169, v172
	v_sub_f16_e64 v175, v175, v122
	v_pack_b32_f16 v54, v89, v54
	v_pack_b32_f16 v89, v92, v91
	v_fma_f16 v92, 2.0, v112, v118
	v_mul_f16_e32 v94, 0x3be1, v121
	v_fma_f16 v91, 2.0, v122, v175
	v_add_f16_e64 v18, v171, v18
	ds_store_2addr_b32 v75, v89, v54 offset0:152 offset1:203
	v_fma_f16 v54, -2.0, v113, v114
	v_fma_f16 v89, -2.0, v169, v172
	v_fma_f16 v94, v103, 0xb924, -v94
	v_add_f16_e64 v90, v173, v90
	v_pack_b32_f16 v177, v172, v175
	v_pack_b32_f16 v54, v54, v92
	;; [unrolled: 1-line block ×3, first 2 shown]
	v_mul_f16_e32 v91, 0x3be1, v123
	v_add_f16_e32 v92, v121, v84
	v_fmac_f16_e32 v94, 0x3aee, v86
	v_pack_b32_f16 v176, v114, v118
	ds_store_2addr_b32 v71, v89, v54 offset0:48 offset1:99
	v_add_f16_e32 v89, v123, v48
	v_add_f16_e32 v54, v108, v56
	v_fmac_f16_e32 v56, 0x3a21, v109
	v_sub_f16_e32 v92, v92, v103
	v_fmac_f16_e32 v94, 0x3579, v84
	v_sub_f16_e32 v89, v89, v50
	v_fma_f16 v50, v50, 0xb924, -v91
	v_add_f16_e32 v91, v107, v116
	v_fmac_f16_e32 v116, 0x3a21, v104
	v_fmac_f16_e64 v56, 0x318f, v171
	v_fmac_f16_e32 v54, -0.5, v18
	v_fmac_f16_e32 v50, 0x3aee, v52
	v_fmac_f16_e32 v91, -0.5, v90
	v_fmac_f16_e64 v116, 0x318f, v173
	v_fmac_f16_e32 v56, -0.5, v108
	v_fmac_f16_e32 v54, 0x3aee, v89
	v_fmac_f16_e32 v50, 0x3579, v48
	;; [unrolled: 1-line block ×3, first 2 shown]
	v_fmac_f16_e32 v116, -0.5, v107
	v_fmac_f16_e32 v56, 0xbb84, v102
	v_fmamk_f16 v18, v72, 0x3a21, v55
	ds_store_2addr_b32 v74, v176, v177 offset0:126 offset1:177
	v_pack_b32_f16 v55, v54, v91
	v_fmac_f16_e32 v116, 0xbb84, v106
	v_add_f16_e32 v48, v50, v56
	v_fmac_f16_e32 v18, 0x318f, v47
	v_sub_f16_e32 v47, v81, v53
	s_delay_alu instid0(VALU_DEP_4) | instskip(NEXT) | instid1(VALU_DEP_3)
	v_sub_f16_e32 v52, v116, v94
	v_fmac_f16_e32 v18, -0.5, v51
	s_delay_alu instid0(VALU_DEP_3) | instskip(NEXT) | instid1(VALU_DEP_3)
	v_fma_f16 v51, 2.0, v53, v47
	v_pack_b32_f16 v56, v48, v52
	v_fma_f16 v48, -2.0, v50, v48
	s_delay_alu instid0(VALU_DEP_4) | instskip(SKIP_3) | instid1(VALU_DEP_2)
	v_fmac_f16_e32 v18, 0xbb84, v65
	ds_store_2addr_b32 v78, v55, v56 offset0:100 offset1:151
	v_mul_f16_e32 v55, 0x3be1, v83
	v_lshrrev_b32_e32 v56, 16, v170
	v_fma_f16 v49, v49, 0xb924, -v55
	s_delay_alu instid0(VALU_DEP_1) | instskip(NEXT) | instid1(VALU_DEP_1)
	v_fmac_f16_e32 v49, 0x3aee, v80
	v_fmac_f16_e32 v49, 0x3579, v68
	s_delay_alu instid0(VALU_DEP_1) | instskip(NEXT) | instid1(VALU_DEP_1)
	v_add_f16_e32 v18, v49, v18
	v_fma_f16 v49, -2.0, v49, v18
	v_pack_b32_f16 v18, v18, v47
	s_delay_alu instid0(VALU_DEP_2)
	v_pack_b32_f16 v47, v49, v51
	v_fma_f16 v49, 2.0, v94, v52
	v_lshrrev_b32_e32 v51, 16, v87
	ds_store_2addr_b32 v88, v18, v47 offset0:204 offset1:255
	v_mul_f16_e32 v18, 0x3aee, v89
	v_mul_f16_e32 v47, 0x3aee, v92
	v_add_nc_u32_e32 v89, 0xe00, v168
	s_delay_alu instid0(VALU_DEP_3) | instskip(NEXT) | instid1(VALU_DEP_3)
	v_fma_f16 v18, -2.0, v18, v54
	v_fma_f16 v47, 2.0, v47, v91
	v_lshrrev_b32_e32 v54, 16, v46
	s_delay_alu instid0(VALU_DEP_2)
	v_pack_b32_f16 v18, v18, v47
	v_pack_b32_f16 v47, v48, v49
	v_lshrrev_b32_e32 v49, 16, v45
	ds_store_2addr_b32 v78, v47, v18 offset0:202 offset1:253
	v_lshrrev_b32_e32 v18, 16, v85
	v_lshrrev_b32_e32 v127, 16, v12
	v_lshrrev_b32_e32 v192, 16, v13
	v_lshrrev_b32_e32 v175, 16, v8
	v_lshrrev_b32_e32 v184, 16, v14
	v_lshrrev_b32_e32 v167, 16, v9
	v_mul_f16_e32 v48, v85, v127
	v_mul_f16_e64 v50, v49, v192
	v_mul_f16_e64 v65, v56, v175
	v_mul_f16_e32 v47, v18, v127
	v_mul_f16_e64 v53, v87, v184
	v_mul_f16_e64 v66, v170, v175
	v_fma_f16 v50, v45, v13, -v50
	v_mul_f16_e64 v45, v45, v192
	v_fma_f16 v65, v170, v8, -v65
	v_lshrrev_b32_e32 v170, 16, v10
	v_fmac_f16_e32 v48, v18, v12
	v_lshrrev_b32_e32 v18, 16, v96
	v_lshrrev_b32_e32 v135, 16, v11
	v_mul_f16_e64 v52, v51, v184
	v_mul_f16_e64 v68, v67, v167
	;; [unrolled: 1-line block ×3, first 2 shown]
	v_fmac_f16_e32 v45, v49, v13
	v_fmac_f16_e32 v53, v51, v14
	v_mul_f16_e64 v49, v18, v135
	v_mul_f16_e64 v51, v96, v135
	v_fma_f16 v47, v85, v12, -v47
	v_fma_f16 v68, v44, v9, -v68
	v_mul_f16_e64 v44, v44, v167
	v_fma_f16 v70, v174, v10, -v70
	v_fma_f16 v49, v96, v11, -v49
	v_fmac_f16_e32 v51, v18, v11
	v_fma_f16 v52, v87, v14, -v52
	v_lshrrev_b32_e32 v171, 16, v15
	v_fmac_f16_e32 v44, v67, v9
	v_add_f16_e32 v18, v47, v49
	v_sub_f16_e32 v47, v47, v49
	v_add_f16_e32 v49, v48, v51
	v_sub_f16_e32 v48, v48, v51
	v_add_f16_e32 v51, v50, v70
	v_mul_f16_e64 v55, v54, v171
	v_mul_f16_e64 v72, v174, v170
	v_fmac_f16_e32 v66, v56, v8
	v_add_f16_e32 v56, v52, v68
	v_add_f16_e32 v67, v53, v44
	v_sub_f16_e32 v44, v53, v44
	v_add_f16_e32 v53, v51, v18
	v_fma_f16 v55, v46, v15, -v55
	v_mul_f16_e64 v46, v46, v171
	v_fmac_f16_e32 v72, v69, v10
	v_sub_f16_e32 v52, v52, v68
	v_add_f16_e32 v68, v56, v53
	v_sub_f16_e32 v69, v55, v65
	v_fmac_f16_e32 v46, v54, v15
	v_add_f16_e32 v54, v45, v72
	v_sub_f16_e32 v50, v50, v70
	v_add_f16_e32 v68, v55, v68
	v_add_f16_e32 v55, v55, v65
	v_sub_f16_e32 v45, v45, v72
	v_sub_f16_e32 v72, v46, v66
	v_mul_f16_e32 v73, 0x3924, v48
	v_add_f16_e32 v65, v65, v68
	v_add_f16_e32 v68, v54, v49
	v_fmamk_f16 v79, v18, 0x3a21, v43
	v_add_f16_e32 v53, v55, v53
	v_fmac_f16_e32 v73, 0x3be1, v45
	v_add_f16_e32 v65, v65, v43
	v_add_f16_e32 v70, v67, v68
	v_fmac_f16_e32 v79, 0x318f, v51
	v_add_f16_e32 v85, v69, v47
	v_fmac_f16_e32 v73, 0x3aee, v44
	v_add_f16_e32 v84, v72, v48
	v_add_f16_e32 v70, v46, v70
	;; [unrolled: 1-line block ×3, first 2 shown]
	v_fmac_f16_e32 v79, -0.5, v56
	v_fmac_f16_e32 v73, 0x3579, v72
	v_sub_f16_e32 v85, v85, v50
	v_add_f16_e32 v66, v66, v70
	v_lshrrev_b32_e32 v70, 16, v43
	v_fmac_f16_e32 v79, 0xbb84, v55
	v_sub_f16_e32 v84, v84, v45
	s_delay_alu instid0(VALU_DEP_3) | instskip(SKIP_1) | instid1(VALU_DEP_4)
	v_add_f16_e32 v66, v66, v70
	v_fmamk_f16 v80, v49, 0x3a21, v70
	v_add_f16_e32 v79, v73, v79
	v_fmamk_f16 v83, v46, 0x3a21, v70
	s_delay_alu instid0(VALU_DEP_4) | instskip(SKIP_2) | instid1(VALU_DEP_4)
	v_pack_b32_f16 v65, v65, v66
	v_mul_f16_e32 v66, 0x3924, v47
	v_fmac_f16_e32 v80, 0x318f, v54
	v_fmac_f16_e32 v83, 0x318f, v49
	s_delay_alu instid0(VALU_DEP_3) | instskip(NEXT) | instid1(VALU_DEP_3)
	v_fmac_f16_e32 v66, 0x3be1, v50
	v_fmac_f16_e32 v80, -0.5, v67
	s_delay_alu instid0(VALU_DEP_3) | instskip(NEXT) | instid1(VALU_DEP_3)
	v_fmac_f16_e32 v83, -0.5, v67
	v_fmac_f16_e32 v66, 0x3aee, v52
	s_delay_alu instid0(VALU_DEP_3) | instskip(NEXT) | instid1(VALU_DEP_3)
	v_fmac_f16_e32 v80, 0xbb84, v46
	v_fmac_f16_e32 v83, 0xbb84, v54
	s_delay_alu instid0(VALU_DEP_3) | instskip(NEXT) | instid1(VALU_DEP_1)
	v_fmac_f16_e32 v66, 0x3579, v69
	v_sub_f16_e32 v80, v80, v66
	s_delay_alu instid0(VALU_DEP_1)
	v_pack_b32_f16 v81, v79, v80
	ds_store_2addr_b32 v82, v65, v81 offset0:150 offset1:201
	v_add_f16_e32 v65, v56, v43
	v_fmamk_f16 v81, v55, 0x3a21, v43
	v_mul_f16_e32 v82, 0xb924, v69
	v_fmac_f16_e32 v43, 0x3a21, v51
	s_delay_alu instid0(VALU_DEP_4)
	v_fmac_f16_e32 v65, -0.5, v53
	v_add_f16_e32 v53, v46, v68
	v_add_f16_e32 v68, v67, v70
	v_fmac_f16_e32 v81, 0x318f, v18
	v_fmac_f16_e32 v82, 0x3be1, v47
	;; [unrolled: 1-line block ×4, first 2 shown]
	v_fmac_f16_e32 v68, -0.5, v53
	v_mul_f16_e32 v53, 0xb924, v72
	v_fmac_f16_e32 v81, -0.5, v56
	v_fmac_f16_e32 v82, 0xbaee, v52
	v_fmac_f16_e32 v70, 0x318f, v46
	v_fmac_f16_e32 v43, -0.5, v56
	v_fmac_f16_e32 v53, 0x3be1, v48
	v_fmac_f16_e32 v81, 0xbb84, v51
	v_mul_f16_e32 v51, 0x3be1, v69
	v_fmac_f16_e32 v82, 0x3579, v50
	v_fmac_f16_e32 v70, -0.5, v67
	v_fmac_f16_e32 v53, 0xbaee, v44
	v_fmac_f16_e32 v43, 0xbb84, v18
	v_fma_f16 v50, v50, 0xb924, -v51
	v_mul_f16_e32 v51, 0x3be1, v72
	v_fmac_f16_e32 v70, 0xbb84, v49
	v_fmac_f16_e32 v53, 0x3579, v45
	v_sub_f16_e32 v83, v83, v82
	v_fmac_f16_e32 v50, 0x3aee, v52
	v_fma_f16 v45, v45, 0xb924, -v51
	v_fmac_f16_e32 v65, 0x3aee, v84
	v_add_f16_e32 v81, v53, v81
	v_fmac_f16_e32 v68, 0xbaee, v85
	v_fmac_f16_e32 v50, 0x3579, v47
	;; [unrolled: 1-line block ×3, first 2 shown]
	v_fma_f16 v46, 2.0, v82, v83
	v_pack_b32_f16 v86, v81, v83
	v_pack_b32_f16 v87, v65, v68
	s_delay_alu instid0(VALU_DEP_4) | instskip(SKIP_3) | instid1(VALU_DEP_2)
	v_fmac_f16_e32 v45, 0x3579, v48
	ds_store_2addr_b32 v89, v86, v87 offset0:124 offset1:175
	v_add_f16_e32 v18, v45, v43
	v_sub_f16_e32 v43, v70, v50
	v_fma_f16 v44, -2.0, v45, v18
	s_delay_alu instid0(VALU_DEP_2) | instskip(SKIP_1) | instid1(VALU_DEP_2)
	v_fma_f16 v45, 2.0, v50, v43
	v_pack_b32_f16 v18, v18, v43
	v_pack_b32_f16 v43, v44, v45
	v_add_nc_u32_e32 v44, 0x1000, v168
	v_mul_f16_e32 v45, 0x3aee, v85
	ds_store_2addr_b32 v44, v18, v43 offset0:98 offset1:149
	v_mul_f16_e32 v43, 0x3aee, v84
	v_fma_f16 v18, -2.0, v53, v81
	v_fma_f16 v45, 2.0, v45, v68
	s_delay_alu instid0(VALU_DEP_3) | instskip(NEXT) | instid1(VALU_DEP_3)
	v_fma_f16 v43, -2.0, v43, v65
	v_pack_b32_f16 v18, v18, v46
	s_delay_alu instid0(VALU_DEP_2)
	v_pack_b32_f16 v43, v43, v45
	v_lshlrev_b32_e32 v45, 3, v115
	ds_store_2addr_b32 v44, v43, v18 offset0:200 offset1:251
	v_fma_f16 v18, -2.0, v73, v79
	v_fma_f16 v43, 2.0, v66, v80
	v_lshlrev_b32_e32 v44, 3, v63
	s_delay_alu instid0(VALU_DEP_2)
	v_pack_b32_f16 v18, v18, v43
	v_lshlrev_b32_e32 v43, 3, v57
	ds_store_b32 v168, v18 offset:5304
	v_lshlrev_b32_e32 v18, 3, v64
	global_wb scope:SCOPE_SE
	s_wait_dscnt 0x0
	s_barrier_signal -1
	s_barrier_wait -1
	global_inv scope:SCOPE_SE
	s_clause 0x3
	global_load_b64 v[182:183], v45, s[0:1] offset:1768
	global_load_b64 v[47:48], v43, s[0:1] offset:1768
	;; [unrolled: 1-line block ×4, first 2 shown]
	ds_load_2addr_b32 v[51:52], v71 offset0:150 offset1:201
	ds_load_2addr_b32 v[65:66], v75 offset0:152 offset1:203
	s_wait_dscnt 0x1
	v_lshrrev_b32_e32 v18, 16, v51
	s_wait_dscnt 0x0
	v_lshrrev_b32_e32 v203, 16, v65
	s_wait_loadcnt 0x3
	v_lshrrev_b32_e32 v189, 16, v183
	s_wait_loadcnt 0x2
	v_lshrrev_b32_e32 v190, 16, v48
	v_lshrrev_b32_e32 v172, 16, v182
	;; [unrolled: 1-line block ×3, first 2 shown]
	s_wait_loadcnt 0x1
	v_lshrrev_b32_e32 v187, 16, v45
	v_mul_f16_e64 v53, v18, v189
	v_mul_f16_e64 v57, v51, v189
	v_mul_f16_e64 v63, v52, v190
	v_mul_f16_e64 v67, v66, v172
	v_lshrrev_b32_e32 v186, 16, v46
	v_fma_f16 v55, v51, v183, -v53
	v_lshrrev_b32_e32 v53, 16, v52
	v_fmac_f16_e64 v57, v18, v183
	v_lshrrev_b32_e32 v18, 16, v66
	s_wait_loadcnt 0x0
	v_lshrrev_b32_e32 v185, 16, v44
	v_lshrrev_b32_e32 v188, 16, v43
	v_mul_f16_e64 v54, v53, v190
	v_fmac_f16_e32 v63, v53, v48
	v_fmac_f16_e64 v67, v18, v182
	v_mul_f16_e64 v18, v18, v172
	s_delay_alu instid0(VALU_DEP_4) | instskip(SKIP_4) | instid1(VALU_DEP_2)
	v_fma_f16 v56, v52, v48, -v54
	ds_load_2addr_b32 v[51:52], v88 offset1:51
	v_fma_f16 v18, v66, v182, -v18
	s_wait_dscnt 0x0
	v_lshrrev_b32_e32 v66, 16, v51
	v_add_f16_e32 v53, v51, v18
	v_lshrrev_b32_e32 v70, 16, v52
	s_delay_alu instid0(VALU_DEP_3) | instskip(NEXT) | instid1(VALU_DEP_3)
	v_add_f16_e32 v54, v66, v67
	v_add_f16_e32 v53, v53, v55
	s_delay_alu instid0(VALU_DEP_2) | instskip(NEXT) | instid1(VALU_DEP_1)
	v_add_f16_e32 v54, v54, v57
	v_pack_b32_f16 v64, v53, v54
	ds_load_2addr_b32 v[53:54], v74 offset0:126 offset1:177
	s_wait_dscnt 0x0
	v_lshrrev_b32_e32 v68, 16, v53
	v_mul_f16_e32 v69, v53, v126
	s_delay_alu instid0(VALU_DEP_1) | instskip(SKIP_1) | instid1(VALU_DEP_2)
	v_fmac_f16_e32 v69, v68, v47
	v_mul_f16_e32 v68, v68, v126
	v_add_f16_e32 v72, v70, v69
	s_delay_alu instid0(VALU_DEP_2) | instskip(NEXT) | instid1(VALU_DEP_2)
	v_fma_f16 v53, v53, v47, -v68
	v_add_f16_e32 v72, v72, v63
	s_delay_alu instid0(VALU_DEP_2) | instskip(NEXT) | instid1(VALU_DEP_1)
	v_add_f16_e32 v68, v52, v53
	v_add_f16_e32 v68, v68, v56
	s_delay_alu instid0(VALU_DEP_1)
	v_pack_b32_f16 v68, v68, v72
	ds_store_2addr_b32 v88, v64, v68 offset1:51
	v_sub_f16_e32 v64, v69, v63
	v_add_f16_e32 v63, v69, v63
	v_add_f16_e32 v68, v53, v56
	v_sub_f16_e32 v53, v53, v56
	s_delay_alu instid0(VALU_DEP_3) | instskip(NEXT) | instid1(VALU_DEP_3)
	v_fmac_f16_e32 v70, -0.5, v63
	v_fmac_f16_e32 v52, -0.5, v68
	s_delay_alu instid0(VALU_DEP_2) | instskip(NEXT) | instid1(VALU_DEP_2)
	v_fmamk_f16 v68, v53, 0xbaee, v70
	v_fmamk_f16 v56, v64, 0x3aee, v52
	v_fmac_f16_e32 v52, 0xbaee, v64
	v_fmac_f16_e32 v70, 0x3aee, v53
	v_add_f16_e32 v53, v18, v55
	v_sub_f16_e32 v18, v18, v55
	s_delay_alu instid0(VALU_DEP_3) | instskip(SKIP_1) | instid1(VALU_DEP_4)
	v_pack_b32_f16 v69, v52, v70
	v_lshrrev_b32_e32 v70, 16, v54
	v_fma_f16 v53, -0.5, v53, v51
	s_delay_alu instid0(VALU_DEP_2) | instskip(NEXT) | instid1(VALU_DEP_1)
	v_mul_f16_e64 v51, v70, v187
	v_fma_f16 v72, v54, v45, -v51
	ds_load_2addr_b32 v[51:52], v76 offset0:124 offset1:175
	v_mul_f16_e64 v54, v54, v187
	s_delay_alu instid0(VALU_DEP_1) | instskip(SKIP_4) | instid1(VALU_DEP_3)
	v_fmac_f16_e32 v54, v70, v45
	s_wait_dscnt 0x0
	v_lshrrev_b32_e32 v73, 16, v51
	v_mul_f16_e64 v81, v52, v185
	v_mul_f16_e64 v82, v51, v186
	;; [unrolled: 1-line block ×3, first 2 shown]
	s_delay_alu instid0(VALU_DEP_2) | instskip(NEXT) | instid1(VALU_DEP_2)
	v_fmac_f16_e32 v82, v73, v46
	v_fma_f16 v79, v51, v46, -v63
	v_lshrrev_b32_e32 v63, 16, v52
	s_delay_alu instid0(VALU_DEP_1) | instskip(SKIP_1) | instid1(VALU_DEP_2)
	v_mul_f16_e64 v64, v63, v185
	v_fmac_f16_e32 v81, v63, v44
	v_fma_f16 v80, v52, v44, -v64
	ds_load_2addr_b32 v[63:64], v78 offset0:100 offset1:151
	s_wait_dscnt 0x0
	v_lshrrev_b32_e32 v51, 16, v63
	v_mul_f16_e64 v83, v63, v188
	s_delay_alu instid0(VALU_DEP_1) | instskip(SKIP_1) | instid1(VALU_DEP_1)
	v_fmac_f16_e32 v83, v51, v43
	v_mul_f16_e64 v51, v51, v188
	v_fma_f16 v63, v63, v43, -v51
	ds_load_2addr_b32 v[51:52], v88 offset0:102 offset1:153
	v_add_f16_e32 v84, v63, v80
	s_wait_dscnt 0x0
	v_lshrrev_b32_e32 v85, 16, v52
	v_add_f16_e32 v86, v52, v63
	s_delay_alu instid0(VALU_DEP_3)
	v_fmac_f16_e32 v52, -0.5, v84
	v_add_f16_e32 v84, v83, v81
	v_sub_f16_e32 v63, v63, v80
	v_add_f16_e32 v87, v85, v83
	v_sub_f16_e32 v83, v83, v81
	v_add_f16_e32 v70, v86, v80
	v_fmac_f16_e32 v85, -0.5, v84
	s_delay_alu instid0(VALU_DEP_4) | instskip(NEXT) | instid1(VALU_DEP_4)
	v_add_f16_e32 v73, v87, v81
	v_fmamk_f16 v84, v83, 0x3aee, v52
	v_fmac_f16_e32 v52, 0xbaee, v83
	s_delay_alu instid0(VALU_DEP_4) | instskip(SKIP_3) | instid1(VALU_DEP_3)
	v_fmamk_f16 v83, v63, 0xbaee, v85
	v_fmac_f16_e32 v85, 0x3aee, v63
	v_add_f16_e32 v63, v72, v79
	v_pack_b32_f16 v70, v70, v73
	v_pack_b32_f16 v52, v52, v85
	v_lshrrev_b32_e32 v85, 16, v51
	s_delay_alu instid0(VALU_DEP_4) | instskip(SKIP_1) | instid1(VALU_DEP_3)
	v_fma_f16 v63, -0.5, v63, v51
	v_add_f16_e32 v51, v51, v72
	v_add_f16_e32 v80, v85, v54
	s_delay_alu instid0(VALU_DEP_2) | instskip(NEXT) | instid1(VALU_DEP_2)
	v_add_f16_e32 v51, v51, v79
	v_add_f16_e32 v80, v80, v82
	s_delay_alu instid0(VALU_DEP_1) | instskip(SKIP_3) | instid1(VALU_DEP_2)
	v_pack_b32_f16 v51, v51, v80
	ds_store_2addr_b32 v88, v51, v70 offset0:102 offset1:153
	v_add_f16_e32 v51, v67, v57
	v_sub_f16_e32 v57, v67, v57
	v_fmac_f16_e32 v66, -0.5, v51
	s_delay_alu instid0(VALU_DEP_2) | instskip(SKIP_2) | instid1(VALU_DEP_4)
	v_fmamk_f16 v73, v57, 0x3aee, v53
	v_fmac_f16_e32 v53, 0xbaee, v57
	v_sub_f16_e32 v51, v54, v82
	v_fmamk_f16 v80, v18, 0xbaee, v66
	v_fmac_f16_e32 v66, 0x3aee, v18
	s_delay_alu instid0(VALU_DEP_2) | instskip(NEXT) | instid1(VALU_DEP_2)
	v_pack_b32_f16 v73, v73, v80
	v_pack_b32_f16 v18, v53, v66
	v_sub_f16_e32 v53, v72, v79
	ds_store_2addr_b32 v71, v18, v69 offset0:150 offset1:201
	v_add_f16_e32 v18, v54, v82
	v_fmamk_f16 v54, v51, 0x3aee, v63
	v_fmac_f16_e32 v63, 0xbaee, v51
	v_lshlrev_b32_e32 v51, 3, v61
	s_delay_alu instid0(VALU_DEP_4) | instskip(SKIP_1) | instid1(VALU_DEP_2)
	v_fmac_f16_e32 v85, -0.5, v18
	v_pack_b32_f16 v18, v56, v68
	v_fmamk_f16 v55, v53, 0xbaee, v85
	v_fmac_f16_e32 v85, 0x3aee, v53
	s_delay_alu instid0(VALU_DEP_2)
	v_pack_b32_f16 v54, v54, v55
	ds_store_2addr_b32 v74, v18, v54 offset0:126 offset1:177
	v_pack_b32_f16 v18, v63, v85
	ds_store_2addr_b32 v76, v18, v52 offset0:124 offset1:175
	v_lshlrev_b32_e32 v18, 3, v62
	v_lshlrev_b32_e32 v52, 3, v60
	;; [unrolled: 1-line block ×3, first 2 shown]
	s_clause 0x3
	global_load_b64 v[57:58], v18, s[0:1] offset:1768
	global_load_b64 v[55:56], v51, s[0:1] offset:1768
	;; [unrolled: 1-line block ×4, first 2 shown]
	v_lshrrev_b32_e32 v18, 16, v64
	ds_load_2addr_b32 v[62:63], v88 offset0:204 offset1:255
	s_wait_dscnt 0x0
	v_lshrrev_b32_e32 v68, 16, v62
	v_lshrrev_b32_e32 v196, 16, v63
	s_wait_loadcnt 0x3
	v_lshrrev_b32_e32 v163, 16, v57
	v_lshrrev_b32_e32 v176, 16, v58
	s_wait_loadcnt 0x2
	;; [unrolled: 3-line block ×3, first 2 shown]
	v_lshrrev_b32_e32 v194, 16, v53
	v_mul_f16_e64 v60, v18, v163
	v_lshrrev_b32_e32 v193, 16, v54
	s_wait_loadcnt 0x0
	v_lshrrev_b32_e32 v177, 16, v52
	v_lshrrev_b32_e32 v191, 16, v51
	v_fma_f16 v66, v64, v57, -v60
	ds_load_2addr_b32 v[60:61], v77 offset0:98 offset1:149
	v_mul_f16_e64 v64, v64, v163
	s_delay_alu instid0(VALU_DEP_1) | instskip(NEXT) | instid1(VALU_DEP_1)
	v_fmac_f16_e32 v64, v18, v57
	v_add_f16_e32 v70, v68, v64
	s_wait_dscnt 0x0
	v_lshrrev_b32_e32 v18, 16, v60
	v_mul_f16_e64 v67, v60, v176
	s_delay_alu instid0(VALU_DEP_1) | instskip(SKIP_1) | instid1(VALU_DEP_2)
	v_fmac_f16_e32 v67, v18, v58
	v_mul_f16_e64 v18, v18, v176
	v_add_f16_e32 v69, v64, v67
	s_delay_alu instid0(VALU_DEP_2) | instskip(SKIP_1) | instid1(VALU_DEP_3)
	v_fma_f16 v18, v60, v58, -v18
	v_sub_f16_e32 v64, v64, v67
	v_fmac_f16_e32 v68, -0.5, v69
	s_delay_alu instid0(VALU_DEP_3) | instskip(SKIP_2) | instid1(VALU_DEP_3)
	v_add_f16_e32 v60, v66, v18
	v_sub_f16_e32 v79, v66, v18
	v_pack_b32_f16 v69, v84, v83
	v_fma_f16 v72, -0.5, v60, v62
	s_delay_alu instid0(VALU_DEP_3) | instskip(SKIP_1) | instid1(VALU_DEP_3)
	v_fmamk_f16 v81, v79, 0xbaee, v68
	v_fmac_f16_e32 v68, 0x3aee, v79
	v_fmamk_f16 v60, v64, 0x3aee, v72
	v_fmac_f16_e32 v72, 0xbaee, v64
	s_delay_alu instid0(VALU_DEP_2) | instskip(SKIP_3) | instid1(VALU_DEP_1)
	v_pack_b32_f16 v60, v60, v81
	v_mul_f16_e64 v81, v61, v205
	ds_store_2addr_b32 v78, v69, v60 offset0:100 offset1:151
	v_lshrrev_b32_e32 v60, 16, v61
	v_mul_f16_e64 v69, v60, v205
	v_fmac_f16_e32 v81, v60, v56
	s_delay_alu instid0(VALU_DEP_2) | instskip(SKIP_1) | instid1(VALU_DEP_1)
	v_fma_f16 v69, v61, v56, -v69
	v_add_f16_e32 v61, v62, v66
	v_add_f16_e32 v18, v61, v18
	;; [unrolled: 1-line block ×3, first 2 shown]
	s_delay_alu instid0(VALU_DEP_1) | instskip(SKIP_4) | instid1(VALU_DEP_1)
	v_pack_b32_f16 v18, v18, v61
	ds_load_2addr_b32 v[60:61], v78 offset0:202 offset1:253
	s_wait_dscnt 0x0
	v_lshrrev_b32_e32 v62, 16, v60
	v_mul_f16_e64 v66, v60, v173
	v_fmac_f16_e32 v66, v62, v55
	v_mul_f16_e64 v62, v62, v173
	s_delay_alu instid0(VALU_DEP_2) | instskip(NEXT) | instid1(VALU_DEP_2)
	v_add_f16_e64 v67, v196, v66
	v_fma_f16 v60, v60, v55, -v62
	s_delay_alu instid0(VALU_DEP_2) | instskip(NEXT) | instid1(VALU_DEP_2)
	v_add_f16_e32 v67, v67, v81
	v_add_f16_e32 v62, v63, v60
	s_delay_alu instid0(VALU_DEP_1) | instskip(NEXT) | instid1(VALU_DEP_1)
	v_add_f16_e32 v62, v62, v69
	v_pack_b32_f16 v62, v62, v67
	ds_store_2addr_b32 v88, v18, v62 offset0:204 offset1:255
	v_add_f16_e32 v18, v60, v69
	v_sub_f16_e32 v62, v66, v81
	s_delay_alu instid0(VALU_DEP_2) | instskip(SKIP_1) | instid1(VALU_DEP_1)
	v_fmac_f16_e32 v63, -0.5, v18
	v_add_f16_e32 v18, v66, v81
	v_fmac_f16_e64 v196, -0.5, v18
	v_sub_f16_e32 v18, v60, v69
	s_delay_alu instid0(VALU_DEP_4)
	v_fmamk_f16 v60, v62, 0x3aee, v63
	v_fmac_f16_e32 v63, 0xbaee, v62
	ds_load_2addr_b32 v[69:70], v77 offset0:200 offset1:251
	v_fma_f16 v62, 0xbaee, v18, v196
	v_fmac_f16_e64 v196, 0x3aee, v18
	v_pack_b32_f16 v18, v72, v68
	ds_load_2addr_b32 v[67:68], v75 offset0:50 offset1:101
	v_pack_b32_f16 v60, v60, v62
	v_pack_b32_f16 v64, v63, v196
	ds_store_2addr_b32 v77, v18, v64 offset0:98 offset1:149
	v_lshrrev_b32_e32 v18, 16, v61
	s_delay_alu instid0(VALU_DEP_1) | instskip(SKIP_3) | instid1(VALU_DEP_3)
	v_mul_f16_e64 v64, v18, v194
	s_wait_dscnt 0x2
	v_mul_f16_e64 v66, v69, v193
	v_mul_f16_e64 v83, v70, v177
	v_fma_f16 v64, v61, v53, -v64
	v_mul_f16_e64 v61, v61, v194
	s_wait_dscnt 0x1
	v_lshrrev_b32_e32 v197, 16, v67
	v_lshrrev_b32_e32 v199, 16, v68
	s_delay_alu instid0(VALU_DEP_3) | instskip(SKIP_1) | instid1(VALU_DEP_2)
	v_fmac_f16_e32 v61, v18, v53
	v_lshrrev_b32_e32 v18, 16, v69
	v_add_f16_e64 v79, v197, v61
	s_delay_alu instid0(VALU_DEP_2) | instskip(SKIP_1) | instid1(VALU_DEP_2)
	v_fmac_f16_e32 v66, v18, v54
	v_mul_f16_e64 v18, v18, v193
	v_add_f16_e32 v72, v61, v66
	s_delay_alu instid0(VALU_DEP_2) | instskip(SKIP_1) | instid1(VALU_DEP_3)
	v_fma_f16 v18, v69, v54, -v18
	v_add_f16_e64 v200, v79, v66
	v_fmac_f16_e64 v197, -0.5, v72
	v_sub_f16_e32 v72, v61, v66
	s_delay_alu instid0(VALU_DEP_4) | instskip(SKIP_2) | instid1(VALU_DEP_3)
	v_add_f16_e32 v61, v64, v18
	v_sub_f16_e32 v81, v64, v18
	v_add_f16_e32 v64, v67, v64
	v_fma_f16 v62, -0.5, v61, v67
	s_delay_alu instid0(VALU_DEP_3) | instskip(NEXT) | instid1(VALU_DEP_3)
	v_fma_f16 v30, 0xbaee, v81, v197
	v_add_f16_e32 v64, v64, v18
	v_fmac_f16_e64 v197, 0x3aee, v81
	s_delay_alu instid0(VALU_DEP_4) | instskip(SKIP_1) | instid1(VALU_DEP_2)
	v_fmamk_f16 v61, v72, 0x3aee, v62
	v_fmac_f16_e32 v62, 0xbaee, v72
	v_pack_b32_f16 v69, v61, v30
	ds_store_2addr_b32 v78, v60, v69 offset0:202 offset1:253
	v_lshrrev_b32_e32 v60, 16, v70
	s_delay_alu instid0(VALU_DEP_1) | instskip(SKIP_1) | instid1(VALU_DEP_2)
	v_mul_f16_e64 v69, v60, v177
	v_fmac_f16_e32 v83, v60, v52
	v_fma_f16 v82, v70, v52, -v69
	ds_load_2addr_b32 v[69:70], v71 offset0:48 offset1:99
	s_wait_dscnt 0x0
	v_lshrrev_b32_e32 v60, 16, v69
	v_mul_f16_e64 v79, v69, v191
	s_delay_alu instid0(VALU_DEP_1) | instskip(SKIP_1) | instid1(VALU_DEP_2)
	v_fmac_f16_e32 v79, v60, v51
	v_mul_f16_e64 v60, v60, v191
	v_add_f16_e64 v18, v199, v79
	s_delay_alu instid0(VALU_DEP_2) | instskip(SKIP_1) | instid1(VALU_DEP_3)
	v_fma_f16 v60, v69, v51, -v60
	v_sub_f16_e32 v69, v79, v83
	v_add_f16_e32 v29, v18, v83
	s_delay_alu instid0(VALU_DEP_3) | instskip(NEXT) | instid1(VALU_DEP_1)
	v_add_f16_e32 v18, v68, v60
	v_add_f16_e32 v66, v18, v82
	v_pack_b32_f16 v18, v64, v200
	s_delay_alu instid0(VALU_DEP_2) | instskip(SKIP_2) | instid1(VALU_DEP_1)
	v_pack_b32_f16 v67, v66, v29
	ds_store_2addr_b32 v75, v18, v67 offset0:50 offset1:101
	v_add_f16_e32 v18, v60, v82
	v_fmac_f16_e32 v68, -0.5, v18
	v_add_f16_e32 v18, v79, v83
	s_delay_alu instid0(VALU_DEP_2) | instskip(NEXT) | instid1(VALU_DEP_2)
	v_fmamk_f16 v67, v69, 0x3aee, v68
	v_fmac_f16_e64 v199, -0.5, v18
	v_sub_f16_e32 v18, v60, v82
	v_fmac_f16_e32 v68, 0xbaee, v69
	s_delay_alu instid0(VALU_DEP_2) | instskip(SKIP_2) | instid1(VALU_DEP_2)
	v_fma_f16 v31, 0xbaee, v18, v199
	v_fmac_f16_e64 v199, 0x3aee, v18
	v_pack_b32_f16 v18, v62, v197
	v_pack_b32_f16 v60, v68, v199
	ds_store_2addr_b32 v77, v18, v60 offset0:200 offset1:251
	v_lshlrev_b32_e32 v18, 3, v59
	global_load_b64 v[59:60], v18, s[0:1] offset:1768
	v_lshrrev_b32_e32 v18, 16, v70
	s_add_nc_u64 s[0:1], s[12:13], 0x1584
	s_wait_loadcnt 0x0
	v_lshrrev_b32_e32 v169, 16, v59
	v_lshrrev_b32_e32 v174, 16, v60
	s_delay_alu instid0(VALU_DEP_2) | instskip(NEXT) | instid1(VALU_DEP_1)
	v_mul_f16_e64 v69, v18, v169
	v_fma_f16 v72, v70, v59, -v69
	v_mul_f16_e64 v70, v70, v169
	s_delay_alu instid0(VALU_DEP_1) | instskip(SKIP_3) | instid1(VALU_DEP_1)
	v_fmac_f16_e32 v70, v18, v59
	ds_load_b32 v18, v88 offset:5304
	s_wait_dscnt 0x0
	v_lshrrev_b32_e32 v69, 16, v18
	v_mul_f16_e64 v79, v69, v174
	s_delay_alu instid0(VALU_DEP_1) | instskip(SKIP_1) | instid1(VALU_DEP_1)
	v_fma_f16 v79, v18, v60, -v79
	v_mul_f16_e64 v18, v18, v174
	v_fmac_f16_e32 v18, v69, v60
	v_add_f16_e64 v69, v203, v70
	s_delay_alu instid0(VALU_DEP_1) | instskip(SKIP_1) | instid1(VALU_DEP_1)
	v_add_f16_e32 v32, v69, v18
	v_add_f16_e32 v69, v65, v72
	;; [unrolled: 1-line block ×3, first 2 shown]
	s_delay_alu instid0(VALU_DEP_1) | instskip(SKIP_3) | instid1(VALU_DEP_2)
	v_pack_b32_f16 v80, v69, v32
	ds_store_2addr_b32 v75, v80, v73 offset0:152 offset1:203
	v_add_f16_e32 v73, v70, v18
	v_sub_f16_e32 v18, v70, v18
	v_fmac_f16_e64 v203, -0.5, v73
	v_add_f16_e32 v73, v72, v79
	v_sub_f16_e32 v72, v72, v79
	s_delay_alu instid0(VALU_DEP_2) | instskip(NEXT) | instid1(VALU_DEP_2)
	v_fmac_f16_e32 v65, -0.5, v73
	v_fma_f16 v132, 0xbaee, v72, v203
	v_fmac_f16_e64 v203, 0x3aee, v72
	v_pack_b32_f16 v73, v67, v31
	v_lshlrev_b32_e32 v72, 2, v115
	v_fmamk_f16 v70, v18, 0x3aee, v65
	v_fmac_f16_e32 v65, 0xbaee, v18
	s_delay_alu instid0(VALU_DEP_2) | instskip(NEXT) | instid1(VALU_DEP_2)
	v_pack_b32_f16 v79, v70, v132
	v_pack_b32_f16 v18, v65, v203
	ds_store_2addr_b32 v71, v73, v79 offset0:48 offset1:99
	ds_store_b32 v88, v18 offset:5304
	global_wb scope:SCOPE_SE
	s_wait_dscnt 0x0
	s_barrier_signal -1
	s_barrier_wait -1
	global_inv scope:SCOPE_SE
	s_clause 0x7
	global_load_b32 v18, v[16:17], off offset:5508
	global_load_b32 v73, v72, s[0:1] offset:324
	global_load_b32 v81, v72, s[0:1] offset:648
	;; [unrolled: 1-line block ×7, first 2 shown]
	ds_load_2addr_b32 v[79:80], v88 offset1:81
	s_wait_dscnt 0x0
	v_lshrrev_b32_e32 v89, 16, v79
	s_wait_loadcnt 0x7
	v_lshrrev_b32_e32 v87, 16, v18
	s_delay_alu instid0(VALU_DEP_1) | instskip(NEXT) | instid1(VALU_DEP_3)
	v_mul_f16_e32 v90, v79, v87
	v_mul_f16_e32 v87, v89, v87
	s_delay_alu instid0(VALU_DEP_2) | instskip(NEXT) | instid1(VALU_DEP_2)
	v_fmac_f16_e32 v90, v89, v18
	v_fma_f16 v18, v79, v18, -v87
	v_lshrrev_b32_e32 v79, 16, v80
	s_wait_loadcnt 0x6
	v_lshrrev_b32_e32 v87, 16, v73
	s_delay_alu instid0(VALU_DEP_3) | instskip(NEXT) | instid1(VALU_DEP_2)
	v_pack_b32_f16 v18, v18, v90
	v_mul_f16_e32 v89, v79, v87
	v_mul_f16_e32 v87, v80, v87
	s_delay_alu instid0(VALU_DEP_2) | instskip(NEXT) | instid1(VALU_DEP_2)
	v_fma_f16 v80, v80, v73, -v89
	v_fmac_f16_e32 v87, v79, v73
	s_delay_alu instid0(VALU_DEP_1)
	v_pack_b32_f16 v73, v80, v87
	ds_store_2addr_b32 v88, v18, v73 offset1:81
	ds_load_2addr_b32 v[79:80], v88 offset0:162 offset1:243
	s_wait_loadcnt 0x5
	v_lshrrev_b32_e32 v18, 16, v81
	s_wait_dscnt 0x0
	v_lshrrev_b32_e32 v73, 16, v79
	s_delay_alu instid0(VALU_DEP_2) | instskip(NEXT) | instid1(VALU_DEP_2)
	v_mul_f16_e32 v87, v79, v18
	v_mul_f16_e32 v18, v73, v18
	s_delay_alu instid0(VALU_DEP_2) | instskip(SKIP_2) | instid1(VALU_DEP_3)
	v_fmac_f16_e32 v87, v73, v81
	s_wait_loadcnt 0x4
	v_lshrrev_b32_e32 v73, 16, v82
	v_fma_f16 v18, v79, v81, -v18
	v_lshrrev_b32_e32 v79, 16, v80
	s_delay_alu instid0(VALU_DEP_2) | instskip(NEXT) | instid1(VALU_DEP_2)
	v_pack_b32_f16 v18, v18, v87
	v_mul_f16_e32 v81, v79, v73
	v_mul_f16_e32 v73, v80, v73
	s_delay_alu instid0(VALU_DEP_2) | instskip(NEXT) | instid1(VALU_DEP_2)
	v_fma_f16 v81, v80, v82, -v81
	v_fmac_f16_e32 v73, v79, v82
	ds_load_2addr_b32 v[79:80], v75 offset0:68 offset1:149
	s_wait_loadcnt 0x3
	v_lshrrev_b32_e32 v82, 16, v83
	v_pack_b32_f16 v73, v81, v73
	s_wait_dscnt 0x0
	v_lshrrev_b32_e32 v89, 16, v79
	s_delay_alu instid0(VALU_DEP_3) | instskip(NEXT) | instid1(VALU_DEP_2)
	v_mul_f16_e32 v90, v79, v82
	v_mul_f16_e32 v82, v89, v82
	s_delay_alu instid0(VALU_DEP_2) | instskip(NEXT) | instid1(VALU_DEP_2)
	v_fmac_f16_e32 v90, v89, v83
	v_fma_f16 v82, v79, v83, -v82
	s_wait_loadcnt 0x2
	v_lshrrev_b32_e32 v79, 16, v84
	v_lshrrev_b32_e32 v83, 16, v80
	s_delay_alu instid0(VALU_DEP_2) | instskip(NEXT) | instid1(VALU_DEP_2)
	v_mul_f16_e32 v91, v80, v79
	v_mul_f16_e32 v89, v83, v79
	s_delay_alu instid0(VALU_DEP_2) | instskip(NEXT) | instid1(VALU_DEP_2)
	v_fmac_f16_e32 v91, v83, v84
	v_fma_f16 v89, v80, v84, -v89
	ds_load_2addr_b32 v[79:80], v74 offset0:102 offset1:183
	s_wait_loadcnt 0x1
	v_lshrrev_b32_e32 v83, 16, v85
	s_wait_dscnt 0x0
	v_lshrrev_b32_e32 v84, 16, v79
	s_delay_alu instid0(VALU_DEP_2) | instskip(NEXT) | instid1(VALU_DEP_2)
	v_mul_f16_e32 v92, v79, v83
	v_mul_f16_e32 v83, v84, v83
	s_delay_alu instid0(VALU_DEP_2) | instskip(SKIP_1) | instid1(VALU_DEP_3)
	v_fmac_f16_e32 v92, v84, v85
	v_lshrrev_b32_e32 v84, 16, v80
	v_fma_f16 v83, v79, v85, -v83
	s_wait_loadcnt 0x0
	v_lshrrev_b32_e32 v79, 16, v86
	s_delay_alu instid0(VALU_DEP_1) | instskip(SKIP_1) | instid1(VALU_DEP_2)
	v_mul_f16_e32 v85, v84, v79
	v_mul_f16_e32 v93, v80, v79
	v_fma_f16 v85, v80, v86, -v85
	s_delay_alu instid0(VALU_DEP_2)
	v_fmac_f16_e32 v93, v84, v86
	s_clause 0x7
	global_load_b32 v84, v72, s[0:1] offset:2592
	global_load_b32 v86, v72, s[0:1] offset:2916
	;; [unrolled: 1-line block ×8, first 2 shown]
	ds_load_2addr_b32 v[79:80], v78 offset0:136 offset1:217
	ds_store_2addr_b32 v88, v18, v73 offset0:162 offset1:243
	v_pack_b32_f16 v18, v82, v90
	v_pack_b32_f16 v73, v89, v91
	ds_store_2addr_b32 v75, v18, v73 offset0:68 offset1:149
	v_pack_b32_f16 v18, v83, v92
	v_pack_b32_f16 v73, v85, v93
	ds_store_2addr_b32 v74, v18, v73 offset0:102 offset1:183
	s_wait_dscnt 0x3
	v_lshrrev_b32_e32 v101, 16, v79
	s_wait_loadcnt 0x7
	v_lshrrev_b32_e32 v100, 16, v84
	s_delay_alu instid0(VALU_DEP_1) | instskip(NEXT) | instid1(VALU_DEP_3)
	v_mul_f16_e32 v102, v79, v100
	v_mul_f16_e32 v100, v101, v100
	s_delay_alu instid0(VALU_DEP_2) | instskip(NEXT) | instid1(VALU_DEP_2)
	v_fmac_f16_e32 v102, v101, v84
	v_fma_f16 v84, v79, v84, -v100
	s_wait_loadcnt 0x6
	v_lshrrev_b32_e32 v79, 16, v86
	v_lshrrev_b32_e32 v100, 16, v80
	s_delay_alu instid0(VALU_DEP_3) | instskip(NEXT) | instid1(VALU_DEP_3)
	v_pack_b32_f16 v18, v84, v102
	v_mul_f16_e32 v103, v80, v79
	s_delay_alu instid0(VALU_DEP_3) | instskip(NEXT) | instid1(VALU_DEP_2)
	v_mul_f16_e32 v101, v100, v79
	v_fmac_f16_e32 v103, v100, v86
	s_delay_alu instid0(VALU_DEP_2)
	v_fma_f16 v101, v80, v86, -v101
	ds_load_2addr_b32 v[79:80], v71 offset0:42 offset1:123
	s_wait_loadcnt 0x5
	v_lshrrev_b32_e32 v86, 16, v94
	v_pack_b32_f16 v73, v101, v103
	ds_store_2addr_b32 v78, v18, v73 offset0:136 offset1:217
	s_wait_dscnt 0x1
	v_lshrrev_b32_e32 v100, 16, v79
	v_mul_f16_e32 v104, v79, v86
	s_delay_alu instid0(VALU_DEP_2) | instskip(NEXT) | instid1(VALU_DEP_2)
	v_mul_f16_e32 v86, v100, v86
	v_fmac_f16_e32 v104, v100, v94
	s_delay_alu instid0(VALU_DEP_2) | instskip(SKIP_3) | instid1(VALU_DEP_3)
	v_fma_f16 v86, v79, v94, -v86
	s_wait_loadcnt 0x4
	v_lshrrev_b32_e32 v79, 16, v95
	v_lshrrev_b32_e32 v94, 16, v80
	v_pack_b32_f16 v18, v86, v104
	s_delay_alu instid0(VALU_DEP_3) | instskip(NEXT) | instid1(VALU_DEP_3)
	v_mul_f16_e32 v105, v80, v79
	v_mul_f16_e32 v100, v94, v79
	s_delay_alu instid0(VALU_DEP_2) | instskip(NEXT) | instid1(VALU_DEP_2)
	v_fmac_f16_e32 v105, v94, v95
	v_fma_f16 v100, v80, v95, -v100
	ds_load_2addr_b32 v[79:80], v76 offset0:76 offset1:157
	s_wait_loadcnt 0x3
	v_lshrrev_b32_e32 v94, 16, v96
	v_pack_b32_f16 v73, v100, v105
	ds_store_2addr_b32 v71, v18, v73 offset0:42 offset1:123
	s_wait_dscnt 0x1
	v_lshrrev_b32_e32 v95, 16, v79
	v_mul_f16_e32 v106, v79, v94
	s_delay_alu instid0(VALU_DEP_2) | instskip(NEXT) | instid1(VALU_DEP_2)
	v_mul_f16_e32 v94, v95, v94
	v_fmac_f16_e32 v106, v95, v96
	v_lshrrev_b32_e32 v95, 16, v80
	s_delay_alu instid0(VALU_DEP_3) | instskip(SKIP_2) | instid1(VALU_DEP_2)
	v_fma_f16 v94, v79, v96, -v94
	s_wait_loadcnt 0x2
	v_lshrrev_b32_e32 v79, 16, v97
	v_pack_b32_f16 v18, v94, v106
	s_delay_alu instid0(VALU_DEP_2) | instskip(SKIP_1) | instid1(VALU_DEP_2)
	v_mul_f16_e32 v96, v95, v79
	v_mul_f16_e32 v107, v80, v79
	v_fma_f16 v96, v80, v97, -v96
	ds_load_2addr_b32 v[79:80], v77 offset0:110 offset1:191
	v_fmac_f16_e32 v107, v95, v97
	s_wait_loadcnt 0x1
	v_lshrrev_b32_e32 v95, 16, v98
	s_delay_alu instid0(VALU_DEP_2) | instskip(SKIP_4) | instid1(VALU_DEP_2)
	v_pack_b32_f16 v73, v96, v107
	ds_store_2addr_b32 v76, v18, v73 offset0:76 offset1:157
	s_wait_dscnt 0x1
	v_lshrrev_b32_e32 v97, 16, v79
	v_mul_f16_e32 v108, v79, v95
	v_mul_f16_e32 v95, v97, v95
	s_delay_alu instid0(VALU_DEP_2) | instskip(SKIP_1) | instid1(VALU_DEP_3)
	v_fmac_f16_e32 v108, v97, v98
	v_lshrrev_b32_e32 v97, 16, v80
	v_fma_f16 v79, v79, v98, -v95
	s_wait_loadcnt 0x0
	v_lshrrev_b32_e32 v95, 16, v99
	s_delay_alu instid0(VALU_DEP_2) | instskip(NEXT) | instid1(VALU_DEP_2)
	v_pack_b32_f16 v18, v79, v108
	v_mul_f16_e32 v98, v97, v95
	v_mul_f16_e32 v95, v80, v95
	s_delay_alu instid0(VALU_DEP_2) | instskip(NEXT) | instid1(VALU_DEP_2)
	v_fma_f16 v80, v80, v99, -v98
	v_fmac_f16_e32 v95, v97, v99
	global_load_b32 v97, v72, s[0:1] offset:5184
	ds_load_b32 v98, v88 offset:5184
	v_pack_b32_f16 v73, v80, v95
	ds_store_2addr_b32 v77, v18, v73 offset0:110 offset1:191
	s_wait_dscnt 0x1
	v_lshrrev_b32_e32 v109, 16, v98
	s_wait_loadcnt 0x0
	v_lshrrev_b32_e32 v99, 16, v97
	s_delay_alu instid0(VALU_DEP_1) | instskip(NEXT) | instid1(VALU_DEP_3)
	v_mul_f16_e32 v110, v98, v99
	v_mul_f16_e32 v99, v109, v99
	s_delay_alu instid0(VALU_DEP_2) | instskip(NEXT) | instid1(VALU_DEP_2)
	v_fmac_f16_e32 v110, v109, v97
	v_fma_f16 v97, v98, v97, -v99
	s_delay_alu instid0(VALU_DEP_1)
	v_pack_b32_f16 v18, v97, v110
	ds_store_b32 v88, v18 offset:5184
	s_and_saveexec_b32 s2, vcc_lo
	s_cbranch_execz .LBB0_9
; %bb.8:
	s_wait_alu 0xfffe
	v_add_co_u32 v72, s0, s0, v72
	s_wait_alu 0xf1ff
	v_add_co_ci_u32_e64 v73, null, s1, 0, s0
	s_clause 0x10
	global_load_b32 v18, v[72:73], off offset:204
	global_load_b32 v79, v[72:73], off offset:528
	;; [unrolled: 1-line block ×17, first 2 shown]
	ds_load_2addr_b32 v[72:73], v88 offset0:51 offset1:132
	s_wait_dscnt 0x0
	v_lshrrev_b32_e32 v80, 16, v72
	v_lshrrev_b32_e32 v82, 16, v73
	s_wait_loadcnt 0x10
	v_lshrrev_b32_e32 v81, 16, v18
	s_wait_loadcnt 0xf
	;; [unrolled: 2-line block ×3, first 2 shown]
	v_lshrrev_b32_e32 v102, 16, v87
	v_mul_f16_e32 v84, v80, v81
	v_mul_f16_e32 v81, v72, v81
	;; [unrolled: 1-line block ×4, first 2 shown]
	s_wait_loadcnt 0xb
	v_lshrrev_b32_e32 v103, 16, v89
	v_fma_f16 v72, v72, v18, -v84
	v_fmac_f16_e32 v81, v80, v18
	v_fma_f16 v18, v73, v79, -v101
	v_fmac_f16_e32 v83, v82, v79
	v_add_nc_u32_e32 v101, 0x200, v88
	v_lshrrev_b32_e32 v84, 16, v86
	v_pack_b32_f16 v72, v72, v81
	s_wait_loadcnt 0xa
	v_lshrrev_b32_e32 v104, 16, v90
	v_pack_b32_f16 v18, v18, v83
	v_lshrrev_b32_e32 v83, 16, v85
	s_wait_loadcnt 0x9
	v_lshrrev_b32_e32 v105, 16, v91
	s_wait_loadcnt 0x8
	;; [unrolled: 2-line block ×3, first 2 shown]
	v_lshrrev_b32_e32 v107, 16, v93
	ds_store_2addr_b32 v88, v72, v18 offset0:51 offset1:132
	ds_load_2addr_b32 v[72:73], v101 offset0:85 offset1:166
	ds_load_2addr_b32 v[79:80], v75 offset0:119 offset1:200
	;; [unrolled: 1-line block ×3, first 2 shown]
	v_add_nc_u32_e32 v18, 0xa00, v88
	s_wait_loadcnt 0x6
	v_lshrrev_b32_e32 v108, 16, v94
	s_wait_dscnt 0x2
	v_lshrrev_b32_e32 v109, 16, v72
	v_lshrrev_b32_e32 v110, 16, v73
	v_mul_f16_e32 v111, v72, v83
	v_mul_f16_e32 v112, v73, v84
	s_wait_dscnt 0x1
	v_lshrrev_b32_e32 v113, 16, v79
	v_mul_f16_e32 v116, v109, v83
	v_mul_f16_e32 v118, v110, v84
	ds_load_2addr_b32 v[83:84], v18 offset0:59 offset1:140
	v_mul_f16_e32 v114, v79, v102
	v_fmac_f16_e32 v111, v109, v85
	v_lshrrev_b32_e32 v109, 16, v80
	v_mul_f16_e32 v102, v113, v102
	v_fmac_f16_e32 v112, v110, v86
	v_fmac_f16_e32 v114, v113, v87
	v_fma_f16 v85, v72, v85, -v116
	v_fma_f16 v86, v73, v86, -v118
	v_mul_f16_e32 v113, v109, v103
	ds_load_2addr_b32 v[72:73], v71 offset0:93 offset1:174
	v_fma_f16 v87, v79, v87, -v102
	s_wait_dscnt 0x2
	v_lshrrev_b32_e32 v79, 16, v81
	v_mul_f16_e32 v103, v80, v103
	v_fma_f16 v102, v80, v89, -v113
	v_lshrrev_b32_e32 v113, 16, v82
	v_mul_f16_e32 v116, v81, v104
	v_mul_f16_e32 v80, v79, v104
	v_fmac_f16_e32 v103, v109, v89
	s_wait_loadcnt 0x5
	v_lshrrev_b32_e32 v110, 16, v95
	v_mul_f16_e32 v104, v113, v105
	v_fmac_f16_e32 v116, v79, v90
	v_fma_f16 v90, v81, v90, -v80
	ds_load_2addr_b32 v[79:80], v76 offset0:127 offset1:208
	s_wait_dscnt 0x2
	v_lshrrev_b32_e32 v81, 16, v83
	v_mul_f16_e32 v105, v82, v105
	v_fma_f16 v104, v82, v91, -v104
	v_mul_f16_e32 v109, v83, v106
	v_lshrrev_b32_e32 v82, 16, v84
	v_mul_f16_e32 v106, v81, v106
	v_fmac_f16_e32 v105, v113, v91
	v_mul_f16_e32 v91, v84, v107
	v_fmac_f16_e32 v109, v81, v92
	s_wait_dscnt 0x1
	v_lshrrev_b32_e32 v113, 16, v72
	v_mul_f16_e32 v81, v82, v107
	v_fma_f16 v83, v83, v92, -v106
	v_lshrrev_b32_e32 v92, 16, v73
	v_fmac_f16_e32 v91, v82, v93
	s_wait_loadcnt 0x4
	v_lshrrev_b32_e32 v89, 16, v96
	v_fma_f16 v84, v84, v93, -v81
	ds_load_2addr_b32 v[81:82], v77 offset0:161 offset1:242
	v_mul_f16_e32 v93, v113, v108
	v_mul_f16_e32 v106, v92, v110
	;; [unrolled: 1-line block ×4, first 2 shown]
	s_wait_loadcnt 0x3
	v_lshrrev_b32_e32 v108, 16, v97
	v_fma_f16 v72, v72, v94, -v93
	s_wait_dscnt 0x1
	v_lshrrev_b32_e32 v93, 16, v79
	v_fmac_f16_e32 v110, v92, v95
	ds_load_b32 v92, v88 offset:5388
	v_fmac_f16_e32 v107, v113, v94
	v_fma_f16 v73, v73, v95, -v106
	v_mul_f16_e32 v94, v79, v89
	v_lshrrev_b32_e32 v106, 16, v80
	v_mul_f16_e32 v89, v93, v89
	s_wait_loadcnt 0x2
	v_lshrrev_b32_e32 v95, 16, v98
	v_pack_b32_f16 v85, v85, v111
	v_fmac_f16_e32 v94, v93, v96
	v_mul_f16_e32 v93, v106, v108
	v_mul_f16_e32 v108, v80, v108
	v_fma_f16 v79, v79, v96, -v89
	s_wait_loadcnt 0x1
	v_lshrrev_b32_e32 v89, 16, v99
	s_wait_dscnt 0x1
	v_mul_f16_e32 v96, v81, v95
	v_fma_f16 v80, v80, v97, -v93
	v_lshrrev_b32_e32 v93, 16, v81
	v_fmac_f16_e32 v108, v106, v97
	v_lshrrev_b32_e32 v97, 16, v82
	v_mul_f16_e32 v106, v82, v89
	v_pack_b32_f16 v86, v86, v112
	v_mul_f16_e32 v95, v93, v95
	v_fmac_f16_e32 v96, v93, v98
	s_wait_loadcnt 0x0
	v_lshrrev_b32_e32 v93, 16, v100
	v_mul_f16_e32 v89, v97, v89
	v_fmac_f16_e32 v106, v97, v99
	s_wait_dscnt 0x0
	v_lshrrev_b32_e32 v97, 16, v92
	v_fma_f16 v81, v81, v98, -v95
	v_mul_f16_e32 v113, v92, v93
	v_fma_f16 v82, v82, v99, -v89
	v_pack_b32_f16 v87, v87, v114
	v_mul_f16_e32 v93, v97, v93
	v_pack_b32_f16 v90, v90, v116
	v_fmac_f16_e32 v113, v97, v100
	v_pack_b32_f16 v83, v83, v109
	v_pack_b32_f16 v84, v84, v91
	v_fma_f16 v89, v92, v100, -v93
	v_pack_b32_f16 v92, v102, v103
	v_pack_b32_f16 v93, v104, v105
	;; [unrolled: 1-line block ×9, first 2 shown]
	ds_store_2addr_b32 v101, v85, v86 offset0:85 offset1:166
	ds_store_2addr_b32 v75, v87, v92 offset0:119 offset1:200
	;; [unrolled: 1-line block ×7, first 2 shown]
	ds_store_b32 v88, v89 offset:5388
.LBB0_9:
	s_wait_alu 0xfffe
	s_or_b32 exec_lo, exec_lo, s2
	global_wb scope:SCOPE_SE
	s_wait_dscnt 0x0
	s_barrier_signal -1
	s_barrier_wait -1
	global_inv scope:SCOPE_SE
	ds_load_2addr_b32 v[72:73], v88 offset1:81
	ds_load_2addr_b32 v[86:87], v88 offset0:162 offset1:243
	ds_load_2addr_b32 v[84:85], v75 offset0:68 offset1:149
	ds_load_2addr_b32 v[82:83], v74 offset0:102 offset1:183
	ds_load_2addr_b32 v[74:75], v78 offset0:136 offset1:217
	ds_load_2addr_b32 v[80:81], v71 offset0:42 offset1:123
	ds_load_2addr_b32 v[78:79], v76 offset0:76 offset1:157
	ds_load_2addr_b32 v[76:77], v77 offset0:110 offset1:191
	ds_load_b32 v210, v88 offset:5184
	s_and_saveexec_b32 s0, vcc_lo
	s_cbranch_execz .LBB0_11
; %bb.10:
	v_add_nc_u32_e32 v18, 0x200, v88
	v_add_nc_u32_e32 v19, 0x400, v88
	;; [unrolled: 1-line block ×3, first 2 shown]
	ds_load_2addr_b32 v[63:64], v88 offset0:51 offset1:132
	ds_load_2addr_b32 v[61:62], v18 offset0:85 offset1:166
	v_add_nc_u32_e32 v18, 0xa00, v88
	ds_load_2addr_b32 v[66:67], v19 offset0:119 offset1:200
	v_add_nc_u32_e32 v19, 0xc00, v88
	;; [unrolled: 2-line block ×4, first 2 shown]
	ds_load_2addr_b32 v[23:24], v19 offset0:93 offset1:174
	ds_load_2addr_b32 v[21:22], v20 offset0:127 offset1:208
	;; [unrolled: 1-line block ×3, first 2 shown]
	ds_load_b32 v125, v88 offset:5388
	s_wait_dscnt 0x8
	v_lshrrev_b32_e32 v196, 16, v63
	v_lshrrev_b32_e32 v200, 16, v64
	s_wait_dscnt 0x7
	v_lshrrev_b32_e32 v30, 16, v61
	v_lshrrev_b32_e32 v197, 16, v62
	;; [unrolled: 3-line block ×4, first 2 shown]
	s_wait_dscnt 0x4
	v_mov_b32_e32 v65, v71
	v_lshrrev_b32_e32 v132, 16, v70
	v_lshrrev_b32_e32 v203, 16, v71
	s_wait_dscnt 0x3
	v_lshrrev_b32_e32 v222, 16, v23
	v_lshrrev_b32_e32 v129, 16, v24
	s_wait_dscnt 0x2
	;; [unrolled: 3-line block ×4, first 2 shown]
	v_lshrrev_b32_e32 v226, 16, v125
.LBB0_11:
	s_wait_alu 0xfffe
	s_or_b32 exec_lo, exec_lo, s0
	s_wait_dscnt 0x8
	v_pk_add_f16 v18, v72, v73
	s_wait_dscnt 0x0
	v_pk_add_f16 v206, v73, v210 neg_lo:[0,1] neg_hi:[0,1]
	v_pk_add_f16 v207, v210, v73
	v_pk_add_f16 v71, v86, v77 neg_lo:[0,1] neg_hi:[0,1]
	v_pk_add_f16 v73, v77, v86
	v_pk_add_f16 v18, v18, v86
	v_pk_mul_f16 v89, 0xb5c8, v206 op_sel_hi:[0,1]
	v_lshrrev_b32_e32 v92, 16, v206
	v_pk_mul_f16 v91, 0xb964, v71 op_sel_hi:[0,1]
	v_pk_add_f16 v211, v82, v81 neg_lo:[0,1] neg_hi:[0,1]
	v_pk_add_f16 v18, v18, v87
	v_pk_fma_f16 v214, 0x3b76, v207, v89 op_sel:[0,0,1] op_sel_hi:[0,1,0]
	v_pk_fma_f16 v215, 0x3b76, v207, v89 op_sel:[0,0,1] op_sel_hi:[0,1,0] neg_lo:[0,0,1] neg_hi:[0,0,1]
	v_pk_add_f16 v212, v81, v82
	v_pk_add_f16 v213, v80, v83
	;; [unrolled: 1-line block ×3, first 2 shown]
	v_lshrrev_b32_e32 v93, 16, v71
	v_bfi_b32 v101, 0xffff, v214, v215
	v_pk_add_f16 v86, v87, v76 neg_lo:[0,1] neg_hi:[0,1]
	v_pk_add_f16 v87, v76, v87
	v_pk_add_f16 v18, v18, v85
	v_lshrrev_b32_e32 v90, 16, v207
	v_mul_f16_e32 v102, 0xbbf7, v93
	v_lshrrev_b32_e32 v216, 16, v72
	v_pk_add_f16 v209, v85, v78 neg_lo:[0,1] neg_hi:[0,1]
	v_pk_add_f16 v18, v18, v82
	v_pk_add_f16 v82, v83, v80 neg_lo:[0,1] neg_hi:[0,1]
	v_mul_f16_e32 v89, 0x39e9, v90
	v_mul_f16_e32 v94, 0x3722, v90
	;; [unrolled: 1-line block ×3, first 2 shown]
	v_pk_add_f16 v18, v18, v83
	v_pk_fma_f16 v83, 0x39e9, v73, v91 op_sel:[0,0,1] op_sel_hi:[0,1,0]
	v_fma_f16 v98, 0x3964, v206, v89
	v_fmac_f16_e64 v89, 0xb964, v206
	v_fma_f16 v99, 0x3bf7, v206, v95
	v_pk_add_f16 v18, v18, v74
	v_fmac_f16_e64 v95, 0xbbf7, v206
	v_add_f16_e64 v98, v216, v98
	v_add_f16_e64 v89, v216, v89
	;; [unrolled: 1-line block ×3, first 2 shown]
	v_pk_add_f16 v18, v18, v75
	v_add_f16_e64 v95, v216, v95
	v_mul_f16_e32 v96, 0xb461, v90
	v_pk_add_f16 v85, v78, v85
	v_mul_f16_e32 v97, 0xb8d2, v90
	v_pk_add_f16 v18, v18, v80
	v_pk_fma_f16 v80, 0x39e9, v73, v91 op_sel:[0,0,1] op_sel_hi:[0,1,0] neg_lo:[0,0,1] neg_hi:[0,0,1]
	v_mul_f16_e32 v91, 0xb964, v92
	v_mul_f16_e32 v90, 0xbacd, v90
	v_fma_f16 v100, 0x3a62, v206, v97
	v_pk_add_f16 v18, v18, v81
	v_fma_f16 v81, 0x3b29, v206, v94
	v_fmac_f16_e64 v94, 0xbb29, v206
	v_fmac_f16_e64 v97, 0xba62, v206
	v_pk_add_f16 v208, v84, v79 neg_lo:[0,1] neg_hi:[0,1]
	v_pk_add_f16 v18, v18, v78
	v_add_f16_e64 v81, v216, v81
	v_add_f16_e64 v94, v216, v94
	v_fma_f16 v78, 0x3bb2, v206, v96
	v_fmac_f16_e64 v96, 0xbbb2, v206
	v_pk_add_f16 v18, v18, v79
	v_add_f16_e64 v97, v216, v97
	v_pk_add_f16 v84, v79, v84
	v_add_f16_e64 v78, v216, v78
	v_add_f16_e64 v96, v216, v96
	v_pk_add_f16 v18, v18, v76
	v_pk_add_f16 v76, v72, v101
	v_fma_f16 v101, 0x39e9, v207, v91
	v_fma_f16 v91, v207, 0x39e9, -v91
	v_fma_f16 v79, 0x3836, v206, v90
	v_pk_add_f16 v18, v18, v77
	v_bfi_b32 v77, 0xffff, v83, v80
	v_fmac_f16_e64 v90, 0xb836, v206
	v_add_f16_e32 v91, v72, v91
	v_add_f16_e64 v79, v216, v79
	v_add_f16_e64 v100, v216, v100
	v_pk_add_f16 v103, v77, v76
	v_pk_add_f16 v76, v18, v210
	v_add_f16_e32 v18, v72, v101
	v_fmamk_f16 v77, v73, 0x2de8, v102
	v_lshrrev_b32_e32 v101, 16, v73
	v_fma_f16 v102, v73, 0x2de8, -v102
	v_add_f16_e64 v90, v216, v90
	v_bfi_b32 v80, 0xffff, v80, v83
	v_add_f16_e32 v18, v77, v18
	v_mul_f16_e32 v77, 0x2de8, v101
	v_add_f16_e32 v91, v102, v91
	v_mul_f16_e32 v102, 0xbb29, v92
	global_wb scope:SCOPE_SE
	s_barrier_signal -1
	v_fmamk_f16 v104, v71, 0x3bf7, v77
	v_fmac_f16_e32 v77, 0xbbf7, v71
	s_barrier_wait -1
	global_inv scope:SCOPE_SE
	v_add_f16_e32 v98, v104, v98
	v_add_f16_e32 v89, v77, v89
	v_fma_f16 v77, 0x3722, v207, v102
	v_mul_f16_e32 v104, 0xba62, v93
	v_fma_f16 v102, v207, 0x3722, -v102
	s_delay_alu instid0(VALU_DEP_3) | instskip(NEXT) | instid1(VALU_DEP_3)
	v_add_f16_e32 v77, v72, v77
	v_fmamk_f16 v105, v73, 0xb8d2, v104
	s_delay_alu instid0(VALU_DEP_3) | instskip(SKIP_1) | instid1(VALU_DEP_3)
	v_add_f16_e32 v102, v72, v102
	v_fma_f16 v104, v73, 0xb8d2, -v104
	v_add_f16_e32 v105, v105, v77
	v_mul_f16_e32 v77, 0xb8d2, v101
	s_delay_alu instid0(VALU_DEP_3) | instskip(NEXT) | instid1(VALU_DEP_2)
	v_add_f16_e32 v102, v104, v102
	v_fmamk_f16 v106, v71, 0x3a62, v77
	v_fmac_f16_e32 v77, 0xba62, v71
	s_delay_alu instid0(VALU_DEP_2) | instskip(NEXT) | instid1(VALU_DEP_2)
	v_add_f16_e32 v81, v106, v81
	v_add_f16_e32 v94, v77, v94
	v_mul_f16_e32 v77, 0xbbf7, v92
	v_mul_f16_e32 v106, 0xb1e1, v93
	s_delay_alu instid0(VALU_DEP_2) | instskip(NEXT) | instid1(VALU_DEP_2)
	v_fma_f16 v104, 0x2de8, v207, v77
	v_fmamk_f16 v107, v73, 0xbbdd, v106
	v_fma_f16 v77, v207, 0x2de8, -v77
	v_fma_f16 v106, v73, 0xbbdd, -v106
	s_delay_alu instid0(VALU_DEP_4) | instskip(NEXT) | instid1(VALU_DEP_3)
	v_add_f16_e32 v104, v72, v104
	v_add_f16_e32 v77, v72, v77
	s_delay_alu instid0(VALU_DEP_2) | instskip(SKIP_1) | instid1(VALU_DEP_3)
	v_add_f16_e32 v104, v107, v104
	v_mul_f16_e32 v107, 0xbbdd, v101
	v_add_f16_e32 v106, v106, v77
	v_mul_f16_e32 v77, 0xbbb2, v92
	s_delay_alu instid0(VALU_DEP_3) | instskip(SKIP_1) | instid1(VALU_DEP_2)
	v_fmamk_f16 v108, v71, 0x31e1, v107
	v_fmac_f16_e32 v107, 0xb1e1, v71
	v_add_f16_e32 v99, v108, v99
	s_delay_alu instid0(VALU_DEP_2) | instskip(SKIP_3) | instid1(VALU_DEP_3)
	v_add_f16_e32 v95, v107, v95
	v_fma_f16 v107, 0xb461, v207, v77
	v_mul_f16_e32 v108, 0x3836, v93
	v_fma_f16 v77, v207, 0xb461, -v77
	v_add_f16_e32 v107, v72, v107
	s_delay_alu instid0(VALU_DEP_3) | instskip(NEXT) | instid1(VALU_DEP_3)
	v_fmamk_f16 v109, v73, 0xbacd, v108
	v_add_f16_e32 v77, v72, v77
	s_delay_alu instid0(VALU_DEP_2) | instskip(SKIP_1) | instid1(VALU_DEP_1)
	v_add_f16_e32 v107, v109, v107
	v_mul_f16_e32 v109, 0xbacd, v101
	v_fmamk_f16 v110, v71, 0xb836, v109
	v_fmac_f16_e32 v109, 0x3836, v71
	s_delay_alu instid0(VALU_DEP_2) | instskip(SKIP_1) | instid1(VALU_DEP_3)
	v_add_f16_e32 v110, v110, v78
	v_fma_f16 v78, v73, 0xbacd, -v108
	v_add_f16_e32 v96, v109, v96
	v_mul_f16_e32 v109, 0x3bb2, v93
	s_delay_alu instid0(VALU_DEP_3) | instskip(SKIP_1) | instid1(VALU_DEP_3)
	v_add_f16_e32 v108, v78, v77
	v_mul_f16_e32 v77, 0xba62, v92
	v_fmamk_f16 v111, v73, 0xb461, v109
	v_fma_f16 v109, v73, 0xb461, -v109
	s_delay_alu instid0(VALU_DEP_3) | instskip(SKIP_1) | instid1(VALU_DEP_2)
	v_fma_f16 v78, 0xb8d2, v207, v77
	v_fma_f16 v77, v207, 0xb8d2, -v77
	v_add_f16_e32 v78, v72, v78
	s_delay_alu instid0(VALU_DEP_2) | instskip(NEXT) | instid1(VALU_DEP_2)
	v_add_f16_e32 v77, v72, v77
	v_add_f16_e32 v111, v111, v78
	v_mul_f16_e32 v78, 0xb461, v101
	s_delay_alu instid0(VALU_DEP_3) | instskip(SKIP_1) | instid1(VALU_DEP_3)
	v_add_f16_e32 v109, v109, v77
	v_mul_f16_e32 v77, 0xb836, v92
	v_fmamk_f16 v112, v71, 0xbbb2, v78
	v_fmac_f16_e32 v78, 0x3bb2, v71
	s_delay_alu instid0(VALU_DEP_3) | instskip(SKIP_1) | instid1(VALU_DEP_4)
	v_fma_f16 v92, 0xbacd, v207, v77
	v_fma_f16 v77, v207, 0xbacd, -v77
	v_add_f16_e32 v100, v112, v100
	s_delay_alu instid0(VALU_DEP_4) | instskip(SKIP_3) | instid1(VALU_DEP_3)
	v_add_f16_e32 v97, v78, v97
	v_mul_f16_e32 v78, 0x3b29, v93
	v_add_f16_e32 v92, v72, v92
	v_add_f16_e32 v77, v72, v77
	v_fmamk_f16 v93, v73, 0x3722, v78
	v_fma_f16 v78, v73, 0x3722, -v78
	v_pk_mul_f16 v73, 0x3b76, v73 op_sel_hi:[0,1]
	s_delay_alu instid0(VALU_DEP_3) | instskip(SKIP_1) | instid1(VALU_DEP_1)
	v_add_f16_e32 v92, v93, v92
	v_mul_f16_e32 v93, 0x3722, v101
	v_fmamk_f16 v101, v71, 0xbb29, v93
	v_fmac_f16_e32 v93, 0x3b29, v71
	s_delay_alu instid0(VALU_DEP_2) | instskip(SKIP_2) | instid1(VALU_DEP_4)
	v_add_f16_e32 v79, v101, v79
	v_add_f16_e32 v101, v78, v77
	v_pk_mul_f16 v78, 0xbb29, v86 op_sel_hi:[0,1]
	v_add_f16_e32 v90, v93, v90
	s_delay_alu instid0(VALU_DEP_2) | instskip(SKIP_1) | instid1(VALU_DEP_1)
	v_pk_fma_f16 v77, 0x3722, v87, v78 op_sel:[0,0,1] op_sel_hi:[0,1,0]
	v_pk_fma_f16 v78, 0x3722, v87, v78 op_sel:[0,0,1] op_sel_hi:[0,1,0] neg_lo:[0,0,1] neg_hi:[0,0,1]
	v_bfi_b32 v93, 0xffff, v77, v78
	v_bfi_b32 v77, 0xffff, v78, v77
	s_delay_alu instid0(VALU_DEP_2) | instskip(SKIP_1) | instid1(VALU_DEP_1)
	v_pk_add_f16 v93, v93, v103
	v_lshrrev_b32_e32 v103, 16, v86
	v_mul_f16_e32 v112, 0xba62, v103
	s_delay_alu instid0(VALU_DEP_1) | instskip(SKIP_1) | instid1(VALU_DEP_2)
	v_fmamk_f16 v113, v87, 0xb8d2, v112
	v_fma_f16 v112, v87, 0xb8d2, -v112
	v_add_f16_e32 v18, v113, v18
	v_lshrrev_b32_e32 v113, 16, v87
	s_delay_alu instid0(VALU_DEP_3) | instskip(SKIP_1) | instid1(VALU_DEP_3)
	v_add_f16_e32 v91, v112, v91
	v_mul_f16_e32 v112, 0x31e1, v103
	v_mul_f16_e32 v114, 0xb8d2, v113
	s_delay_alu instid0(VALU_DEP_1) | instskip(SKIP_1) | instid1(VALU_DEP_2)
	v_fmamk_f16 v116, v86, 0x3a62, v114
	v_fmac_f16_e32 v114, 0xba62, v86
	v_add_f16_e32 v98, v116, v98
	s_delay_alu instid0(VALU_DEP_2) | instskip(SKIP_1) | instid1(VALU_DEP_1)
	v_add_f16_e32 v89, v114, v89
	v_fmamk_f16 v114, v87, 0xbbdd, v112
	v_add_f16_e32 v105, v114, v105
	v_mul_f16_e32 v114, 0xbbdd, v113
	s_delay_alu instid0(VALU_DEP_1) | instskip(SKIP_1) | instid1(VALU_DEP_2)
	v_fmamk_f16 v116, v86, 0xb1e1, v114
	v_fmac_f16_e32 v114, 0x31e1, v86
	v_add_f16_e32 v116, v116, v81
	v_fma_f16 v81, v87, 0xbbdd, -v112
	s_delay_alu instid0(VALU_DEP_3) | instskip(NEXT) | instid1(VALU_DEP_2)
	v_add_f16_e32 v94, v114, v94
	v_add_f16_e32 v102, v81, v102
	v_mul_f16_e32 v81, 0x3bb2, v103
	s_delay_alu instid0(VALU_DEP_1) | instskip(SKIP_1) | instid1(VALU_DEP_2)
	v_fmamk_f16 v112, v87, 0xb461, v81
	v_fma_f16 v81, v87, 0xb461, -v81
	v_add_f16_e32 v104, v112, v104
	v_mul_f16_e32 v112, 0xb461, v113
	s_delay_alu instid0(VALU_DEP_3) | instskip(SKIP_1) | instid1(VALU_DEP_3)
	v_add_f16_e32 v106, v81, v106
	v_mul_f16_e32 v81, 0x3964, v103
	v_fmamk_f16 v114, v86, 0xbbb2, v112
	v_fmac_f16_e32 v112, 0x3bb2, v86
	s_delay_alu instid0(VALU_DEP_2) | instskip(NEXT) | instid1(VALU_DEP_2)
	v_add_f16_e32 v99, v114, v99
	v_add_f16_e32 v95, v112, v95
	v_fmamk_f16 v112, v87, 0x39e9, v81
	v_fma_f16 v81, v87, 0x39e9, -v81
	s_delay_alu instid0(VALU_DEP_2) | instskip(SKIP_1) | instid1(VALU_DEP_3)
	v_add_f16_e32 v107, v112, v107
	v_mul_f16_e32 v112, 0x39e9, v113
	v_add_f16_e32 v108, v81, v108
	v_mul_f16_e32 v81, 0xb5c8, v103
	s_delay_alu instid0(VALU_DEP_3) | instskip(SKIP_1) | instid1(VALU_DEP_2)
	v_fmamk_f16 v114, v86, 0xb964, v112
	v_fmac_f16_e32 v112, 0x3964, v86
	v_add_f16_e32 v110, v114, v110
	s_delay_alu instid0(VALU_DEP_2) | instskip(SKIP_2) | instid1(VALU_DEP_2)
	v_add_f16_e32 v96, v112, v96
	v_fmamk_f16 v112, v87, 0x3b76, v81
	v_fma_f16 v81, v87, 0x3b76, -v81
	v_add_f16_e32 v111, v112, v111
	s_delay_alu instid0(VALU_DEP_2) | instskip(SKIP_2) | instid1(VALU_DEP_2)
	v_add_f16_e32 v109, v81, v109
	v_mul_f16_e32 v81, 0xbbf7, v103
	v_mul_f16_e32 v112, 0x3b76, v113
	v_fmamk_f16 v103, v87, 0x2de8, v81
	s_delay_alu instid0(VALU_DEP_2) | instskip(SKIP_1) | instid1(VALU_DEP_3)
	v_fmamk_f16 v114, v86, 0x35c8, v112
	v_fmac_f16_e32 v112, 0xb5c8, v86
	v_add_f16_e32 v92, v103, v92
	v_mul_f16_e32 v103, 0x2de8, v113
	s_delay_alu instid0(VALU_DEP_3) | instskip(SKIP_1) | instid1(VALU_DEP_3)
	v_add_f16_e32 v97, v112, v97
	v_add_f16_e32 v100, v114, v100
	v_fmamk_f16 v112, v86, 0x3bf7, v103
	v_fmac_f16_e32 v103, 0xbbf7, v86
	s_delay_alu instid0(VALU_DEP_2) | instskip(SKIP_2) | instid1(VALU_DEP_4)
	v_add_f16_e32 v112, v112, v79
	v_fma_f16 v79, v87, 0x2de8, -v81
	v_pk_mul_f16 v81, 0xbbf7, v208 op_sel_hi:[0,1]
	v_add_f16_e32 v90, v103, v90
	v_pk_mul_f16 v87, 0xbacd, v87 op_sel_hi:[0,1]
	s_delay_alu instid0(VALU_DEP_4) | instskip(NEXT) | instid1(VALU_DEP_4)
	v_add_f16_e32 v101, v79, v101
	v_pk_fma_f16 v79, 0x2de8, v84, v81 op_sel:[0,0,1] op_sel_hi:[0,1,0]
	v_pk_fma_f16 v81, 0x2de8, v84, v81 op_sel:[0,0,1] op_sel_hi:[0,1,0] neg_lo:[0,0,1] neg_hi:[0,0,1]
	s_delay_alu instid0(VALU_DEP_1) | instskip(NEXT) | instid1(VALU_DEP_1)
	v_bfi_b32 v103, 0xffff, v79, v81
	v_pk_add_f16 v93, v103, v93
	v_lshrrev_b32_e32 v103, 16, v208
	s_delay_alu instid0(VALU_DEP_1) | instskip(NEXT) | instid1(VALU_DEP_1)
	v_mul_f16_e32 v113, 0xb1e1, v103
	v_fmamk_f16 v114, v84, 0xbbdd, v113
	v_fma_f16 v113, v84, 0xbbdd, -v113
	s_delay_alu instid0(VALU_DEP_2) | instskip(SKIP_1) | instid1(VALU_DEP_3)
	v_add_f16_e32 v18, v114, v18
	v_lshrrev_b32_e32 v114, 16, v84
	v_add_f16_e32 v91, v113, v91
	v_mul_f16_e32 v113, 0x3bb2, v103
	s_delay_alu instid0(VALU_DEP_3) | instskip(NEXT) | instid1(VALU_DEP_1)
	v_mul_f16_e32 v118, 0xbbdd, v114
	v_fma_f16 v121, 0x31e1, v208, v118
	v_fmac_f16_e64 v118, 0xb1e1, v208
	s_delay_alu instid0(VALU_DEP_2) | instskip(NEXT) | instid1(VALU_DEP_2)
	v_add_f16_e32 v98, v121, v98
	v_add_f16_e32 v89, v118, v89
	v_fmamk_f16 v118, v84, 0xb461, v113
	v_fma_f16 v113, v84, 0xb461, -v113
	s_delay_alu instid0(VALU_DEP_2) | instskip(SKIP_1) | instid1(VALU_DEP_3)
	v_add_f16_e32 v105, v118, v105
	v_mul_f16_e32 v118, 0xb461, v114
	v_add_f16_e32 v102, v113, v102
	v_mul_f16_e32 v113, 0x35c8, v103
	s_delay_alu instid0(VALU_DEP_3) | instskip(SKIP_1) | instid1(VALU_DEP_2)
	v_fma_f16 v121, 0xbbb2, v208, v118
	v_fmac_f16_e64 v118, 0x3bb2, v208
	v_add_f16_e32 v116, v121, v116
	s_delay_alu instid0(VALU_DEP_2) | instskip(SKIP_2) | instid1(VALU_DEP_2)
	v_add_f16_e32 v94, v118, v94
	v_fmamk_f16 v118, v84, 0x3b76, v113
	v_fma_f16 v113, v84, 0x3b76, -v113
	v_add_f16_e32 v104, v118, v104
	v_mul_f16_e32 v118, 0x3b76, v114
	s_delay_alu instid0(VALU_DEP_3) | instskip(SKIP_1) | instid1(VALU_DEP_3)
	v_add_f16_e32 v106, v113, v106
	v_mul_f16_e32 v113, 0xbb29, v103
	v_fma_f16 v121, 0xb5c8, v208, v118
	v_fmac_f16_e64 v118, 0x35c8, v208
	s_delay_alu instid0(VALU_DEP_2) | instskip(NEXT) | instid1(VALU_DEP_2)
	v_add_f16_e32 v99, v121, v99
	v_add_f16_e32 v95, v118, v95
	v_fmamk_f16 v118, v84, 0x3722, v113
	v_fma_f16 v113, v84, 0x3722, -v113
	s_delay_alu instid0(VALU_DEP_2) | instskip(SKIP_1) | instid1(VALU_DEP_3)
	v_add_f16_e32 v107, v118, v107
	v_mul_f16_e32 v118, 0x3722, v114
	v_add_f16_e32 v108, v113, v108
	v_mul_f16_e32 v113, 0xb836, v103
	v_mul_f16_e32 v103, 0x3a62, v103
	s_delay_alu instid0(VALU_DEP_4) | instskip(SKIP_1) | instid1(VALU_DEP_2)
	v_fma_f16 v121, 0x3b29, v208, v118
	v_fmac_f16_e64 v118, 0xbb29, v208
	v_add_f16_e32 v110, v121, v110
	s_delay_alu instid0(VALU_DEP_2) | instskip(SKIP_2) | instid1(VALU_DEP_2)
	v_add_f16_e32 v96, v118, v96
	v_fmamk_f16 v118, v84, 0xbacd, v113
	v_fma_f16 v113, v84, 0xbacd, -v113
	v_add_f16_e32 v111, v118, v111
	s_delay_alu instid0(VALU_DEP_2) | instskip(SKIP_4) | instid1(VALU_DEP_4)
	v_add_f16_e32 v109, v113, v109
	v_fmamk_f16 v113, v84, 0xb8d2, v103
	v_fma_f16 v103, v84, 0xb8d2, -v103
	v_mul_f16_e32 v118, 0xbacd, v114
	v_pk_mul_f16 v84, 0x39e9, v84 op_sel_hi:[0,1]
	v_add_f16_e32 v92, v113, v92
	s_delay_alu instid0(VALU_DEP_4) | instskip(SKIP_4) | instid1(VALU_DEP_4)
	v_add_f16_e32 v101, v103, v101
	v_pk_mul_f16 v103, 0xbbb2, v209 op_sel_hi:[0,1]
	v_mul_f16_e32 v113, 0xb8d2, v114
	v_fma_f16 v121, 0x3836, v208, v118
	v_fmac_f16_e64 v118, 0xb836, v208
	v_pk_fma_f16 v210, 0xb461, v85, v103 op_sel:[0,0,1] op_sel_hi:[0,1,0]
	v_pk_fma_f16 v216, 0xb461, v85, v103 op_sel:[0,0,1] op_sel_hi:[0,1,0] neg_lo:[0,0,1] neg_hi:[0,0,1]
	v_fma_f16 v114, 0xba62, v208, v113
	v_fmac_f16_e64 v113, 0x3a62, v208
	v_add_f16_e32 v97, v118, v97
	v_add_f16_e32 v100, v121, v100
	v_bfi_b32 v103, 0xffff, v210, v216
	v_add_f16_e32 v112, v114, v112
	v_add_f16_e32 v90, v113, v90
	s_delay_alu instid0(VALU_DEP_3) | instskip(SKIP_1) | instid1(VALU_DEP_1)
	v_pk_add_f16 v93, v103, v93
	v_lshrrev_b32_e32 v103, 16, v209
	v_mul_f16_e32 v113, 0x3836, v103
	s_delay_alu instid0(VALU_DEP_1) | instskip(SKIP_1) | instid1(VALU_DEP_2)
	v_fmamk_f16 v114, v85, 0xbacd, v113
	v_fma_f16 v113, v85, 0xbacd, -v113
	v_add_f16_e32 v18, v114, v18
	v_lshrrev_b32_e32 v114, 16, v85
	s_delay_alu instid0(VALU_DEP_3) | instskip(SKIP_1) | instid1(VALU_DEP_3)
	v_add_f16_e32 v91, v113, v91
	v_mul_f16_e32 v113, 0x3964, v103
	v_mul_f16_e32 v118, 0xbacd, v114
	s_delay_alu instid0(VALU_DEP_1) | instskip(SKIP_1) | instid1(VALU_DEP_2)
	v_fma_f16 v121, 0xb836, v209, v118
	v_fmac_f16_e64 v118, 0x3836, v209
	v_add_f16_e32 v98, v121, v98
	s_delay_alu instid0(VALU_DEP_2) | instskip(SKIP_2) | instid1(VALU_DEP_2)
	v_add_f16_e32 v89, v118, v89
	v_fmamk_f16 v118, v85, 0x39e9, v113
	v_fma_f16 v113, v85, 0x39e9, -v113
	v_add_f16_e32 v105, v118, v105
	v_mul_f16_e32 v118, 0x39e9, v114
	s_delay_alu instid0(VALU_DEP_3) | instskip(SKIP_1) | instid1(VALU_DEP_3)
	v_add_f16_e32 v102, v113, v102
	v_mul_f16_e32 v113, 0xbb29, v103
	v_fma_f16 v121, 0xb964, v209, v118
	v_fmac_f16_e64 v118, 0x3964, v209
	s_delay_alu instid0(VALU_DEP_2) | instskip(NEXT) | instid1(VALU_DEP_2)
	v_add_f16_e32 v116, v121, v116
	v_add_f16_e32 v94, v118, v94
	v_fmamk_f16 v118, v85, 0x3722, v113
	v_fma_f16 v113, v85, 0x3722, -v113
	s_delay_alu instid0(VALU_DEP_2) | instskip(SKIP_1) | instid1(VALU_DEP_3)
	v_add_f16_e32 v104, v118, v104
	v_mul_f16_e32 v118, 0x3722, v114
	v_add_f16_e32 v106, v113, v106
	v_mul_f16_e32 v113, 0xb1e1, v103
	s_delay_alu instid0(VALU_DEP_3) | instskip(SKIP_1) | instid1(VALU_DEP_2)
	v_fma_f16 v121, 0x3b29, v209, v118
	v_fmac_f16_e64 v118, 0xbb29, v209
	v_add_f16_e32 v99, v121, v99
	s_delay_alu instid0(VALU_DEP_2) | instskip(SKIP_2) | instid1(VALU_DEP_2)
	v_add_f16_e32 v95, v118, v95
	v_fmamk_f16 v118, v85, 0xbbdd, v113
	v_fma_f16 v113, v85, 0xbbdd, -v113
	v_add_f16_e32 v107, v118, v107
	v_mul_f16_e32 v118, 0xbbdd, v114
	s_delay_alu instid0(VALU_DEP_3) | instskip(SKIP_2) | instid1(VALU_DEP_4)
	v_add_f16_e32 v108, v113, v108
	v_mul_f16_e32 v113, 0x3bf7, v103
	v_mul_f16_e32 v103, 0xb5c8, v103
	v_fma_f16 v121, 0x31e1, v209, v118
	v_fmac_f16_e64 v118, 0xb1e1, v209
	s_delay_alu instid0(VALU_DEP_2) | instskip(NEXT) | instid1(VALU_DEP_2)
	v_add_f16_e32 v110, v121, v110
	v_add_f16_e32 v96, v118, v96
	v_fmamk_f16 v118, v85, 0x2de8, v113
	v_fma_f16 v113, v85, 0x2de8, -v113
	s_delay_alu instid0(VALU_DEP_2) | instskip(NEXT) | instid1(VALU_DEP_2)
	v_add_f16_e32 v111, v118, v111
	v_add_f16_e32 v109, v113, v109
	v_fmamk_f16 v113, v85, 0x3b76, v103
	v_fma_f16 v103, v85, 0x3b76, -v103
	v_mul_f16_e32 v118, 0x2de8, v114
	s_delay_alu instid0(VALU_DEP_3) | instskip(NEXT) | instid1(VALU_DEP_3)
	v_add_f16_e32 v92, v113, v92
	v_add_f16_e32 v101, v103, v101
	v_pk_mul_f16 v103, 0xba62, v211 op_sel_hi:[0,1]
	v_mul_f16_e32 v113, 0x3b76, v114
	v_fma_f16 v121, 0xbbf7, v209, v118
	v_fmac_f16_e64 v118, 0x3bf7, v209
	s_delay_alu instid0(VALU_DEP_4)
	v_pk_fma_f16 v217, 0xb8d2, v212, v103 op_sel:[0,0,1] op_sel_hi:[0,1,0]
	v_pk_fma_f16 v218, 0xb8d2, v212, v103 op_sel:[0,0,1] op_sel_hi:[0,1,0] neg_lo:[0,0,1] neg_hi:[0,0,1]
	v_fma_f16 v114, 0x35c8, v209, v113
	v_fmac_f16_e64 v113, 0xb5c8, v209
	v_add_f16_e32 v97, v118, v97
	v_add_f16_e32 v100, v121, v100
	v_bfi_b32 v103, 0xffff, v217, v218
	v_add_f16_e32 v112, v114, v112
	v_add_f16_e32 v90, v113, v90
	s_delay_alu instid0(VALU_DEP_3) | instskip(SKIP_1) | instid1(VALU_DEP_1)
	v_pk_add_f16 v93, v103, v93
	v_lshrrev_b32_e32 v103, 16, v211
	v_mul_f16_e32 v113, 0x3bb2, v103
	s_delay_alu instid0(VALU_DEP_1) | instskip(SKIP_1) | instid1(VALU_DEP_2)
	v_fma_f16 v114, 0xb461, v212, v113
	v_fma_f16 v113, v212, 0xb461, -v113
	v_add_f16_e32 v18, v114, v18
	v_lshrrev_b32_e32 v114, 16, v212
	s_delay_alu instid0(VALU_DEP_3) | instskip(SKIP_1) | instid1(VALU_DEP_3)
	v_add_f16_e32 v91, v113, v91
	v_mul_f16_e32 v113, 0xb5c8, v103
	v_mul_f16_e32 v118, 0xb461, v114
	s_delay_alu instid0(VALU_DEP_1) | instskip(SKIP_1) | instid1(VALU_DEP_2)
	v_fma_f16 v121, 0xbbb2, v211, v118
	v_fmac_f16_e64 v118, 0x3bb2, v211
	v_add_f16_e32 v98, v121, v98
	s_delay_alu instid0(VALU_DEP_2) | instskip(SKIP_2) | instid1(VALU_DEP_2)
	v_add_f16_e32 v89, v118, v89
	v_fma_f16 v118, 0x3b76, v212, v113
	v_fma_f16 v113, v212, 0x3b76, -v113
	v_add_f16_e32 v105, v118, v105
	v_mul_f16_e32 v118, 0x3b76, v114
	s_delay_alu instid0(VALU_DEP_3) | instskip(SKIP_1) | instid1(VALU_DEP_3)
	v_add_f16_e32 v102, v113, v102
	v_mul_f16_e32 v113, 0xb836, v103
	v_fma_f16 v121, 0x35c8, v211, v118
	v_fmac_f16_e64 v118, 0xb5c8, v211
	s_delay_alu instid0(VALU_DEP_2) | instskip(NEXT) | instid1(VALU_DEP_2)
	v_add_f16_e32 v116, v121, v116
	v_add_f16_e32 v94, v118, v94
	v_fma_f16 v118, 0xbacd, v212, v113
	v_fma_f16 v113, v212, 0xbacd, -v113
	s_delay_alu instid0(VALU_DEP_2) | instskip(SKIP_1) | instid1(VALU_DEP_3)
	v_add_f16_e32 v104, v118, v104
	v_mul_f16_e32 v118, 0xbacd, v114
	v_add_f16_e32 v106, v113, v106
	v_mul_f16_e32 v113, 0x3bf7, v103
	s_delay_alu instid0(VALU_DEP_3) | instskip(SKIP_1) | instid1(VALU_DEP_2)
	v_fma_f16 v121, 0x3836, v211, v118
	v_fmac_f16_e64 v118, 0xb836, v211
	v_add_f16_e32 v99, v121, v99
	s_delay_alu instid0(VALU_DEP_2) | instskip(SKIP_2) | instid1(VALU_DEP_2)
	v_add_f16_e32 v95, v118, v95
	v_fma_f16 v118, 0x2de8, v212, v113
	v_fma_f16 v113, v212, 0x2de8, -v113
	v_add_f16_e32 v107, v118, v107
	v_mul_f16_e32 v118, 0x2de8, v114
	s_delay_alu instid0(VALU_DEP_3) | instskip(SKIP_2) | instid1(VALU_DEP_4)
	v_add_f16_e32 v108, v113, v108
	v_mul_f16_e32 v113, 0xb964, v103
	v_mul_f16_e32 v103, 0xb1e1, v103
	v_fma_f16 v121, 0xbbf7, v211, v118
	v_fmac_f16_e64 v118, 0x3bf7, v211
	s_delay_alu instid0(VALU_DEP_2) | instskip(NEXT) | instid1(VALU_DEP_2)
	v_add_f16_e32 v110, v121, v110
	v_add_f16_e32 v96, v118, v96
	v_fma_f16 v118, 0x39e9, v212, v113
	v_fma_f16 v113, v212, 0x39e9, -v113
	s_delay_alu instid0(VALU_DEP_2) | instskip(NEXT) | instid1(VALU_DEP_2)
	v_add_f16_e32 v111, v118, v111
	v_add_f16_e32 v109, v113, v109
	v_fma_f16 v113, 0xbbdd, v212, v103
	v_fma_f16 v103, v212, 0xbbdd, -v103
	v_mul_f16_e32 v118, 0x39e9, v114
	s_delay_alu instid0(VALU_DEP_3) | instskip(SKIP_1) | instid1(VALU_DEP_4)
	v_add_f16_e32 v92, v113, v92
	v_mul_f16_e32 v113, 0xbbdd, v114
	v_add_f16_e32 v101, v103, v101
	v_pk_mul_f16 v103, 0xb836, v82 op_sel_hi:[0,1]
	v_fma_f16 v121, 0x3964, v211, v118
	v_fmac_f16_e64 v118, 0xb964, v211
	v_fma_f16 v114, 0x31e1, v211, v113
	v_fmac_f16_e64 v113, 0xb1e1, v211
	s_delay_alu instid0(VALU_DEP_4) | instskip(NEXT) | instid1(VALU_DEP_4)
	v_add_f16_e32 v100, v121, v100
	v_add_f16_e32 v97, v118, v97
	s_delay_alu instid0(VALU_DEP_4) | instskip(NEXT) | instid1(VALU_DEP_4)
	v_add_f16_e32 v112, v114, v112
	v_add_f16_e32 v90, v113, v90
	v_pk_fma_f16 v113, 0xbacd, v213, v103 op_sel:[0,0,1] op_sel_hi:[0,1,0]
	v_pk_fma_f16 v103, 0xbacd, v213, v103 op_sel:[0,0,1] op_sel_hi:[0,1,0] neg_lo:[0,0,1] neg_hi:[0,0,1]
	s_delay_alu instid0(VALU_DEP_1) | instskip(NEXT) | instid1(VALU_DEP_1)
	v_bfi_b32 v114, 0xffff, v113, v103
	v_pk_add_f16 v93, v114, v93
	v_lshrrev_b32_e32 v114, 16, v82
	s_delay_alu instid0(VALU_DEP_1) | instskip(NEXT) | instid1(VALU_DEP_1)
	v_mul_f16_e32 v118, 0x3b29, v114
	v_fma_f16 v121, 0x3722, v213, v118
	v_fma_f16 v118, v213, 0x3722, -v118
	s_delay_alu instid0(VALU_DEP_2) | instskip(SKIP_1) | instid1(VALU_DEP_3)
	v_add_f16_e32 v18, v121, v18
	v_lshrrev_b32_e32 v121, 16, v213
	v_add_f16_e32 v91, v118, v91
	v_mul_f16_e32 v118, 0xbbf7, v114
	s_delay_alu instid0(VALU_DEP_3) | instskip(NEXT) | instid1(VALU_DEP_1)
	v_mul_f16_e32 v122, 0x3722, v121
	v_fmamk_f16 v123, v82, 0xbb29, v122
	v_fmac_f16_e32 v122, 0x3b29, v82
	s_delay_alu instid0(VALU_DEP_2) | instskip(NEXT) | instid1(VALU_DEP_2)
	v_add_f16_e32 v98, v123, v98
	v_add_f16_e32 v89, v122, v89
	v_fma_f16 v122, 0x2de8, v213, v118
	v_fma_f16 v118, v213, 0x2de8, -v118
	s_delay_alu instid0(VALU_DEP_2) | instskip(SKIP_1) | instid1(VALU_DEP_3)
	v_add_f16_e32 v105, v122, v105
	v_mul_f16_e32 v122, 0x2de8, v121
	v_add_f16_e32 v102, v118, v102
	v_mul_f16_e32 v118, 0x3a62, v114
	s_delay_alu instid0(VALU_DEP_3) | instskip(SKIP_1) | instid1(VALU_DEP_2)
	v_fmamk_f16 v123, v82, 0x3bf7, v122
	v_fmac_f16_e32 v122, 0xbbf7, v82
	v_add_f16_e32 v116, v123, v116
	s_delay_alu instid0(VALU_DEP_2) | instskip(SKIP_2) | instid1(VALU_DEP_2)
	v_add_f16_e32 v94, v122, v94
	v_fma_f16 v122, 0xb8d2, v213, v118
	v_fma_f16 v118, v213, 0xb8d2, -v118
	v_add_f16_e32 v104, v122, v104
	v_mul_f16_e32 v122, 0xb8d2, v121
	s_delay_alu instid0(VALU_DEP_3) | instskip(SKIP_1) | instid1(VALU_DEP_3)
	v_add_f16_e32 v106, v118, v106
	v_mul_f16_e32 v118, 0xb5c8, v114
	v_fmamk_f16 v123, v82, 0xba62, v122
	v_fmac_f16_e32 v122, 0x3a62, v82
	s_delay_alu instid0(VALU_DEP_2) | instskip(NEXT) | instid1(VALU_DEP_2)
	v_add_f16_e32 v99, v123, v99
	v_add_f16_e32 v95, v122, v95
	v_fma_f16 v122, 0x3b76, v213, v118
	v_fma_f16 v118, v213, 0x3b76, -v118
	s_delay_alu instid0(VALU_DEP_2) | instskip(SKIP_1) | instid1(VALU_DEP_3)
	v_add_f16_e32 v107, v122, v107
	v_mul_f16_e32 v122, 0x3b76, v121
	v_add_f16_e32 v108, v118, v108
	v_mul_f16_e32 v118, 0xb1e1, v114
	s_delay_alu instid0(VALU_DEP_3) | instskip(SKIP_1) | instid1(VALU_DEP_2)
	v_fmamk_f16 v123, v82, 0x35c8, v122
	v_fmac_f16_e32 v122, 0xb5c8, v82
	v_add_f16_e32 v110, v123, v110
	s_delay_alu instid0(VALU_DEP_2) | instskip(SKIP_2) | instid1(VALU_DEP_2)
	v_add_f16_e32 v96, v122, v96
	v_fma_f16 v122, 0xbbdd, v213, v118
	v_fma_f16 v118, v213, 0xbbdd, -v118
	v_add_f16_e32 v111, v122, v111
	v_mul_f16_e32 v122, 0xbbdd, v121
	s_delay_alu instid0(VALU_DEP_3) | instskip(SKIP_2) | instid1(VALU_DEP_4)
	v_add_f16_e32 v109, v118, v109
	v_pk_add_f16 v118, v74, v75 neg_lo:[0,1] neg_hi:[0,1]
	v_pk_add_f16 v74, v75, v74
	v_fmamk_f16 v123, v82, 0x31e1, v122
	v_fmac_f16_e32 v122, 0xb1e1, v82
	s_delay_alu instid0(VALU_DEP_2) | instskip(NEXT) | instid1(VALU_DEP_2)
	v_add_f16_e32 v100, v123, v100
	v_add_f16_e32 v75, v122, v97
	v_mul_f16_e32 v97, 0x3964, v114
	s_delay_alu instid0(VALU_DEP_1) | instskip(SKIP_1) | instid1(VALU_DEP_2)
	v_fma_f16 v114, 0x39e9, v213, v97
	v_fma_f16 v97, v213, 0x39e9, -v97
	v_add_f16_e32 v92, v114, v92
	v_mul_f16_e32 v114, 0x39e9, v121
	s_delay_alu instid0(VALU_DEP_3) | instskip(SKIP_1) | instid1(VALU_DEP_3)
	v_add_f16_e32 v97, v97, v101
	v_pk_mul_f16 v101, 0xb1e1, v118 op_sel_hi:[0,1]
	v_fmamk_f16 v121, v82, 0xb964, v114
	v_fmac_f16_e32 v114, 0x3964, v82
	s_delay_alu instid0(VALU_DEP_2) | instskip(NEXT) | instid1(VALU_DEP_2)
	v_add_f16_e32 v112, v121, v112
	v_add_f16_e32 v90, v114, v90
	v_pk_fma_f16 v114, 0xbbdd, v74, v101 op_sel:[0,0,1] op_sel_hi:[0,1,0]
	v_pk_fma_f16 v101, 0xbbdd, v74, v101 op_sel:[0,0,1] op_sel_hi:[0,1,0] neg_lo:[0,0,1] neg_hi:[0,0,1]
	s_delay_alu instid0(VALU_DEP_1) | instskip(NEXT) | instid1(VALU_DEP_1)
	v_bfi_b32 v121, 0xffff, v114, v101
	v_pk_add_f16 v93, v121, v93
	v_lshrrev_b32_e32 v121, 16, v118
	s_delay_alu instid0(VALU_DEP_1) | instskip(NEXT) | instid1(VALU_DEP_1)
	v_mul_f16_e32 v122, 0x35c8, v121
	v_fmamk_f16 v123, v74, 0x3b76, v122
	v_fma_f16 v122, v74, 0x3b76, -v122
	s_delay_alu instid0(VALU_DEP_2) | instskip(SKIP_1) | instid1(VALU_DEP_3)
	v_add_f16_e32 v18, v123, v18
	v_lshrrev_b32_e32 v123, 16, v74
	v_add_f16_e32 v91, v122, v91
	v_mul_f16_e32 v122, 0xb836, v121
	s_delay_alu instid0(VALU_DEP_3) | instskip(NEXT) | instid1(VALU_DEP_1)
	v_mul_f16_e64 v219, 0x3b76, v123
	v_fma_f16 v220, 0xb5c8, v118, v219
	v_fmac_f16_e64 v219, 0x35c8, v118
	s_delay_alu instid0(VALU_DEP_2) | instskip(NEXT) | instid1(VALU_DEP_2)
	v_add_f16_e64 v98, v220, v98
	v_add_f16_e64 v89, v219, v89
	v_fma_f16 v219, 0xbacd, v74, v122
	v_fma_f16 v122, v74, 0xbacd, -v122
	s_delay_alu instid0(VALU_DEP_4) | instskip(NEXT) | instid1(VALU_DEP_3)
	v_pack_b32_f16 v18, v18, v98
	v_add_f16_e64 v105, v219, v105
	v_mul_f16_e64 v219, 0xbacd, v123
	s_delay_alu instid0(VALU_DEP_4) | instskip(SKIP_1) | instid1(VALU_DEP_3)
	v_add_f16_e32 v102, v122, v102
	v_mul_f16_e32 v122, 0x3964, v121
	v_fma_f16 v220, 0x3836, v118, v219
	v_fmac_f16_e64 v219, 0xb836, v118
	s_delay_alu instid0(VALU_DEP_2) | instskip(NEXT) | instid1(VALU_DEP_2)
	v_add_f16_e64 v116, v220, v116
	v_add_f16_e64 v94, v219, v94
	v_fma_f16 v219, 0x39e9, v74, v122
	v_fma_f16 v122, v74, 0x39e9, -v122
	s_delay_alu instid0(VALU_DEP_4) | instskip(SKIP_1) | instid1(VALU_DEP_4)
	v_pack_b32_f16 v105, v105, v116
	v_bfi_b32 v116, 0xffff, v215, v214
	v_add_f16_e64 v104, v219, v104
	v_mul_f16_e64 v219, 0x39e9, v123
	v_add_f16_e32 v106, v122, v106
	v_mul_f16_e32 v122, 0xba62, v121
	v_pk_add_f16 v116, v72, v116
	s_delay_alu instid0(VALU_DEP_4) | instskip(SKIP_1) | instid1(VALU_DEP_3)
	v_fma_f16 v220, 0xb964, v118, v219
	v_fmac_f16_e64 v219, 0x3964, v118
	v_pk_add_f16 v80, v80, v116
	s_delay_alu instid0(VALU_DEP_3) | instskip(NEXT) | instid1(VALU_DEP_3)
	v_add_f16_e64 v99, v220, v99
	v_add_f16_e64 v95, v219, v95
	v_fma_f16 v219, 0xb8d2, v74, v122
	v_fma_f16 v122, v74, 0xb8d2, -v122
	v_pk_add_f16 v77, v77, v80
	v_bfi_b32 v80, 0xffff, v216, v210
	s_delay_alu instid0(VALU_DEP_4) | instskip(SKIP_4) | instid1(VALU_DEP_4)
	v_add_f16_e64 v107, v219, v107
	v_mul_f16_e64 v219, 0xb8d2, v123
	v_add_f16_e32 v108, v122, v108
	v_mul_f16_e32 v122, 0x3b29, v121
	v_mul_f16_e32 v121, 0xbbb2, v121
	v_fma_f16 v220, 0x3a62, v118, v219
	v_fmac_f16_e64 v219, 0xba62, v118
	s_delay_alu instid0(VALU_DEP_2) | instskip(NEXT) | instid1(VALU_DEP_2)
	v_add_f16_e64 v110, v220, v110
	v_add_f16_e64 v96, v219, v96
	v_fma_f16 v219, 0x3722, v74, v122
	v_fma_f16 v122, v74, 0x3722, -v122
	s_delay_alu instid0(VALU_DEP_4) | instskip(SKIP_1) | instid1(VALU_DEP_4)
	v_pack_b32_f16 v98, v107, v110
	v_pk_mul_f16 v107, 0xbbdd, v207 op_sel_hi:[0,1]
	v_add_f16_e64 v111, v219, v111
	s_delay_alu instid0(VALU_DEP_4)
	v_add_f16_e32 v109, v122, v109
	v_fmamk_f16 v122, v74, 0xb461, v121
	v_mul_f16_e64 v219, 0x3722, v123
	v_fma_f16 v121, v74, 0xb461, -v121
	v_pk_fma_f16 v110, 0xb1e1, v206, v107 op_sel:[0,0,1] op_sel_hi:[0,1,0]
	v_pk_fma_f16 v107, 0xb1e1, v206, v107 op_sel:[0,0,1] op_sel_hi:[0,1,0] neg_lo:[0,1,0] neg_hi:[0,1,0]
	v_add_f16_e32 v92, v122, v92
	v_mul_f16_e32 v122, 0xb461, v123
	v_add_f16_e32 v97, v121, v97
	v_alignbit_b32 v121, s0, v110, 16
	v_pk_add_f16 v107, v72, v107 op_sel:[1,0] op_sel_hi:[0,1]
	v_pk_mul_f16 v74, 0x2de8, v74 op_sel_hi:[0,1]
	v_fmamk_f16 v123, v118, 0x3bb2, v122
	v_fmac_f16_e32 v122, 0xbbb2, v118
	v_pk_add_f16 v121, v72, v121
	v_alignbit_b32 v72, s0, v72, 16
	v_fma_f16 v220, 0xbb29, v118, v219
	v_add_f16_e32 v112, v123, v112
	v_add_f16_e32 v90, v122, v90
	v_pk_fma_f16 v122, 0x35c8, v71, v73 op_sel:[0,0,1] op_sel_hi:[0,1,0]
	v_pk_fma_f16 v71, 0x35c8, v71, v73 op_sel:[0,0,1] op_sel_hi:[0,1,0] neg_lo:[0,1,0] neg_hi:[0,1,0]
	v_pk_add_f16 v72, v72, v110
	v_add_f16_e64 v100, v220, v100
	v_fmac_f16_e64 v219, 0x3b29, v118
	v_alignbit_b32 v73, s0, v122, 16
	v_pk_add_f16 v71, v71, v107
	v_pk_fma_f16 v107, 0xb836, v86, v87 op_sel:[0,0,1] op_sel_hi:[0,1,0]
	v_pk_fma_f16 v86, 0xb836, v86, v87 op_sel:[0,0,1] op_sel_hi:[0,1,0] neg_lo:[0,1,0] neg_hi:[0,1,0]
	v_pk_add_f16 v72, v122, v72
	v_pk_add_f16 v73, v73, v121
	v_pack_b32_f16 v92, v92, v112
	v_alignbit_b32 v87, s0, v107, 16
	v_pk_add_f16 v71, v86, v71
	v_pk_fma_f16 v86, 0x3964, v208, v84 op_sel:[0,0,1] op_sel_hi:[0,1,0]
	v_pk_fma_f16 v84, 0x3964, v208, v84 op_sel:[0,0,1] op_sel_hi:[0,1,0] neg_lo:[0,1,0] neg_hi:[0,1,0]
	v_pk_add_f16 v72, v107, v72
	v_pk_add_f16 v73, v87, v73
	v_pack_b32_f16 v87, v104, v99
	v_alignbit_b32 v99, s0, v86, 16
	v_pk_add_f16 v71, v84, v71
	v_pk_mul_f16 v84, 0xb8d2, v85 op_sel_hi:[0,1]
	v_pk_add_f16 v72, v86, v72
	v_add_f16_e64 v75, v219, v75
	v_pk_add_f16 v73, v99, v73
	s_delay_alu instid0(VALU_DEP_4) | instskip(SKIP_1) | instid1(VALU_DEP_2)
	v_pk_fma_f16 v85, 0xba62, v209, v84 op_sel:[0,0,1] op_sel_hi:[0,1,0]
	v_pk_fma_f16 v84, 0xba62, v209, v84 op_sel:[0,0,1] op_sel_hi:[0,1,0] neg_lo:[0,1,0] neg_hi:[0,1,0]
	v_alignbit_b32 v86, s0, v85, 16
	s_delay_alu instid0(VALU_DEP_2) | instskip(SKIP_2) | instid1(VALU_DEP_4)
	v_pk_add_f16 v71, v84, v71
	v_pk_mul_f16 v84, 0x3722, v212 op_sel_hi:[0,1]
	v_pk_add_f16 v72, v85, v72
	v_pk_add_f16 v73, v86, v73
	s_delay_alu instid0(VALU_DEP_3) | instskip(SKIP_1) | instid1(VALU_DEP_2)
	v_pk_fma_f16 v85, 0x3b29, v211, v84 op_sel:[0,0,1] op_sel_hi:[0,1,0]
	v_pk_fma_f16 v84, 0x3b29, v211, v84 op_sel:[0,0,1] op_sel_hi:[0,1,0] neg_lo:[0,1,0] neg_hi:[0,1,0]
	v_alignbit_b32 v83, s0, v85, 16
	s_delay_alu instid0(VALU_DEP_2) | instskip(SKIP_1) | instid1(VALU_DEP_3)
	v_pk_add_f16 v71, v84, v71
	v_pk_add_f16 v72, v85, v72
	;; [unrolled: 1-line block ×3, first 2 shown]
	v_pk_mul_f16 v83, 0xb461, v213 op_sel_hi:[0,1]
	s_delay_alu instid0(VALU_DEP_1) | instskip(SKIP_1) | instid1(VALU_DEP_2)
	v_pk_fma_f16 v84, 0xbbb2, v82, v83 op_sel:[0,0,1] op_sel_hi:[0,1,0]
	v_pk_fma_f16 v82, 0xbbb2, v82, v83 op_sel:[0,0,1] op_sel_hi:[0,1,0] neg_lo:[0,1,0] neg_hi:[0,1,0]
	v_alignbit_b32 v78, s0, v84, 16
	s_delay_alu instid0(VALU_DEP_2) | instskip(SKIP_1) | instid1(VALU_DEP_3)
	v_pk_add_f16 v71, v82, v71
	v_pk_add_f16 v72, v84, v72
	;; [unrolled: 1-line block ×3, first 2 shown]
	v_bfi_b32 v78, 0xffff, v81, v79
	v_pk_fma_f16 v79, 0x3bf7, v118, v74 op_sel:[0,0,1] op_sel_hi:[0,1,0]
	v_pk_fma_f16 v74, 0x3bf7, v118, v74 op_sel:[0,0,1] op_sel_hi:[0,1,0] neg_lo:[0,1,0] neg_hi:[0,1,0]
	v_pack_b32_f16 v81, v111, v100
	ds_store_2addr_b32 v133, v76, v93 offset1:1
	ds_store_2addr_b32 v133, v18, v105 offset0:2 offset1:3
	ds_store_2addr_b32 v133, v87, v98 offset0:4 offset1:5
	;; [unrolled: 1-line block ×3, first 2 shown]
	v_pk_add_f16 v77, v78, v77
	v_pk_add_f16 v71, v74, v71
	v_alignbit_b32 v78, s0, v79, 16
	v_pk_add_f16 v72, v79, v72
	v_pack_b32_f16 v76, v106, v95
	v_pk_add_f16 v74, v80, v77
	v_bfi_b32 v77, 0xffff, v218, v217
	v_pk_add_f16 v73, v78, v73
	v_alignbit_b32 v72, v72, v71, 16
	v_pack_b32_f16 v78, v91, v89
	v_pack_b32_f16 v79, v102, v94
	v_pk_add_f16 v18, v77, v74
	v_bfi_b32 v74, 0xffff, v103, v113
	v_pack_b32_f16 v71, v73, v71
	v_pack_b32_f16 v73, v109, v75
	;; [unrolled: 1-line block ×4, first 2 shown]
	v_pk_add_f16 v18, v74, v18
	v_bfi_b32 v74, 0xffff, v101, v114
	s_delay_alu instid0(VALU_DEP_1)
	v_pk_add_f16 v18, v74, v18
	ds_store_2addr_b32 v133, v71, v72 offset0:8 offset1:9
	ds_store_2addr_b32 v133, v75, v73 offset0:10 offset1:11
	;; [unrolled: 1-line block ×4, first 2 shown]
	ds_store_b32 v133, v18 offset:64
	s_and_saveexec_b32 s0, vcc_lo
	s_cbranch_execz .LBB0_13
; %bb.12:
	v_add_f16_e32 v18, v64, v63
	s_clause 0x1
	scratch_store_b32 off, v191, off offset:152
	scratch_store_b64 off, v[55:56], off offset:136
	v_dual_mov_b32 v191, v226 :: v_dual_mov_b32 v56, v223
	v_add_f16_e32 v18, v61, v18
	v_sub_f16_e32 v72, v68, v24
	v_add_f16_e32 v79, v125, v64
	s_delay_alu instid0(VALU_DEP_4)
	v_sub_f16_e64 v73, v200, v191
	v_sub_f16_e32 v71, v70, v65
	v_add_f16_e32 v18, v62, v18
	v_add_f16_e32 v93, v56, v30
	v_mul_f16_e32 v99, 0x3b29, v72
	v_mul_f16_e32 v77, 0xbb29, v73
	;; [unrolled: 1-line block ×3, first 2 shown]
	v_add_f16_e32 v18, v66, v18
	v_mul_f16_e32 v74, 0xb836, v73
	v_mul_f16_e32 v75, 0xba62, v73
	;; [unrolled: 1-line block ×3, first 2 shown]
	v_fmamk_f16 v85, v79, 0x3722, v77
	v_add_f16_e32 v18, v67, v18
	v_fma_f16 v86, v79, 0x3722, -v77
	v_fmamk_f16 v77, v79, 0x39e9, v78
	v_fma_f16 v78, v79, 0x39e9, -v78
	v_fmamk_f16 v81, v79, 0xbacd, v74
	v_add_f16_e32 v18, v68, v18
	v_add_f16_e32 v68, v24, v68
	v_fma_f16 v74, v79, 0xbacd, -v74
	v_fmamk_f16 v82, v79, 0xb8d2, v75
	v_fma_f16 v75, v79, 0xb8d2, -v75
	v_add_f16_e32 v18, v69, v18
	v_fmamk_f16 v84, v79, 0x2de8, v76
	v_fma_f16 v76, v79, 0x2de8, -v76
	v_add_f16_e32 v81, v63, v81
	v_add_f16_e32 v82, v63, v82
	;; [unrolled: 1-line block ×9, first 2 shown]
	v_sub_f16_e32 v70, v69, v23
	v_add_f16_e32 v91, v63, v75
	v_add_f16_e32 v77, v63, v76
	;; [unrolled: 1-line block ×4, first 2 shown]
	v_sub_f16_e32 v69, v67, v21
	v_add_f16_e32 v75, v63, v86
	v_sub_f16_e32 v74, v61, v20
	v_add_f16_e32 v18, v24, v18
	;; [unrolled: 2-line block ×3, first 2 shown]
	v_add_f16_e64 v86, v191, v200
	v_mul_f16_e32 v97, 0xba62, v69
	v_add_f16_e32 v18, v21, v18
	v_add_f16_e32 v21, v21, v67
	v_mul_f16_e32 v67, 0xb1e1, v73
	v_mul_f16_e32 v101, 0xbbb2, v70
	v_add_f16_e64 v109, v203, v132
	v_add_f16_e32 v18, v22, v18
	v_mul_f16_e32 v22, 0xbbb2, v73
	v_mul_f16_e32 v73, 0xb5c8, v73
	v_fma_f16 v80, v79, 0xbbdd, -v67
	v_fmac_f16_e32 v67, 0xbbdd, v79
	v_add_f16_e32 v18, v19, v18
	v_fmamk_f16 v83, v79, 0xb461, v22
	v_fma_f16 v22, v79, 0xb461, -v22
	v_fmamk_f16 v87, v79, 0x3b76, v73
	v_fma_f16 v73, v79, 0x3b76, -v73
	v_add_f16_e32 v79, v63, v80
	v_add_f16_e32 v80, v63, v67
	;; [unrolled: 1-line block ×7, first 2 shown]
	v_mul_f16_e32 v122, 0xb461, v93
	scratch_store_b32 off, v22, off offset:180 ; 4-byte Folded Spill
	v_add_f16_e32 v22, v63, v73
	v_sub_f16_e32 v63, v62, v19
	v_add_f16_e32 v73, v20, v61
	v_add_f16_e32 v61, v19, v62
	v_sub_f16_e32 v62, v64, v125
	v_mul_f16_e32 v64, 0x35c8, v74
	s_clause 0x2
	scratch_store_b32 off, v22, off offset:176
	scratch_store_b32 off, v176, off offset:132
	;; [unrolled: 1-line block ×3, first 2 shown]
	v_dual_mov_b32 v177, v58 :: v_dual_mov_b32 v176, v57
	v_mul_f16_e32 v20, 0xb1e1, v62
	v_fmamk_f16 v76, v93, 0x3b76, v64
	v_dual_mov_b32 v57, v224 :: v_dual_mov_b32 v58, v225
	v_fma_f16 v64, v93, 0x3b76, -v64
	s_delay_alu instid0(VALU_DEP_4) | instskip(SKIP_1) | instid1(VALU_DEP_4)
	v_fmamk_f16 v19, v86, 0xbbdd, v20
	v_fma_f16 v20, v86, 0xbbdd, -v20
	v_add_f16_e64 v94, v57, v197
	v_add_f16_e32 v95, v58, v29
	v_fmamk_f16 v123, v74, 0xbbb2, v122
	v_add_f16_e64 v19, v196, v19
	v_add_f16_e64 v20, v196, v20
	v_mul_f16_e64 v219, 0xbacd, v93
	v_dual_mov_b32 v202, v221 :: v_dual_mov_b32 v131, v222
	s_delay_alu instid0(VALU_DEP_4)
	v_add_f16_e32 v19, v76, v19
	v_mul_f16_e32 v76, 0xb836, v63
	v_add_f16_e32 v20, v64, v20
	v_fma_f16 v220, 0xb836, v74, v219
	v_mul_f16_e64 v235, 0xbbdd, v93
	v_mul_f16_e64 v251, 0xb8d2, v93
	v_fmamk_f16 v78, v94, 0xbacd, v76
	v_fma_f16 v76, v94, 0xbacd, -v76
	v_mov_b32_e32 v22, v139
	v_fma_f16 v236, 0x31e1, v74, v235
	v_fma_f16 v252, 0x3a62, v74, v251
	v_add_f16_e32 v19, v78, v19
	v_mul_f16_e32 v78, 0x3964, v24
	v_add_f16_e32 v20, v76, v20
	v_mov_b32_e32 v50, v140
	v_fmac_f16_e64 v251, 0xba62, v74
	v_fmac_f16_e32 v122, 0x3bb2, v74
	v_fmamk_f16 v96, v95, 0x39e9, v78
	v_fma_f16 v76, v95, 0x39e9, -v78
	v_fmac_f16_e64 v219, 0x3836, v74
	v_fmac_f16_e64 v235, 0xb1e1, v74
	v_add_f16_e32 v18, v125, v18
	v_add_f16_e32 v19, v96, v19
	v_add_f16_e64 v96, v221, v31
	v_add_f16_e32 v20, v76, v20
	s_clause 0x1
	scratch_store_b32 off, v124, off offset:224
	scratch_store_b32 off, v134, off offset:128
	v_mov_b32_e32 v55, v146
	v_fmamk_f16 v98, v96, 0xb8d2, v97
	v_mov_b32_e32 v67, v141
	v_dual_mov_b32 v165, v126 :: v_dual_mov_b32 v126, v56
	v_mov_b32_e32 v49, v170
	s_delay_alu instid0(VALU_DEP_4) | instskip(SKIP_1) | instid1(VALU_DEP_1)
	v_add_f16_e32 v19, v98, v19
	v_add_f16_e64 v98, v129, v199
	v_fmamk_f16 v100, v98, 0x3722, v99
	s_delay_alu instid0(VALU_DEP_1) | instskip(SKIP_1) | instid1(VALU_DEP_1)
	v_add_f16_e32 v19, v100, v19
	v_add_f16_e64 v100, v222, v32
	v_fmamk_f16 v102, v100, 0xb461, v101
	s_delay_alu instid0(VALU_DEP_1) | instskip(SKIP_3) | instid1(VALU_DEP_3)
	v_add_f16_e32 v19, v102, v19
	v_sub_f16_e32 v102, v30, v56
	v_mov_b32_e32 v56, v186
	v_mov_b32_e32 v186, v147
	v_mul_f16_e32 v103, 0x35c8, v102
	s_delay_alu instid0(VALU_DEP_1) | instskip(SKIP_1) | instid1(VALU_DEP_2)
	v_fma_f16 v104, v73, 0x3b76, -v103
	v_fmac_f16_e32 v103, 0x3b76, v73
	v_add_f16_e32 v79, v104, v79
	v_sub_f16_e64 v104, v197, v57
	s_delay_alu instid0(VALU_DEP_1) | instskip(NEXT) | instid1(VALU_DEP_1)
	v_mul_f16_e32 v105, 0xb836, v104
	v_fma_f16 v106, v61, 0xbacd, -v105
	v_fmac_f16_e32 v105, 0xbacd, v61
	s_delay_alu instid0(VALU_DEP_2) | instskip(SKIP_1) | instid1(VALU_DEP_1)
	v_add_f16_e32 v79, v106, v79
	v_sub_f16_e32 v106, v29, v58
	v_mul_f16_e32 v107, 0x3964, v106
	s_delay_alu instid0(VALU_DEP_1) | instskip(SKIP_1) | instid1(VALU_DEP_2)
	v_fma_f16 v108, v66, 0x39e9, -v107
	v_fmac_f16_e32 v107, 0x39e9, v66
	v_add_f16_e32 v79, v108, v79
	v_mul_f16_e32 v108, 0x3bf7, v71
	s_delay_alu instid0(VALU_DEP_1) | instskip(NEXT) | instid1(VALU_DEP_1)
	v_fmamk_f16 v110, v109, 0x2de8, v108
	v_add_f16_e32 v19, v110, v19
	v_sub_f16_e64 v110, v31, v221
	scratch_store_b32 off, v19, off offset:172 ; 4-byte Folded Spill
	v_mul_f16_e32 v111, 0xba62, v110
	s_delay_alu instid0(VALU_DEP_1) | instskip(SKIP_1) | instid1(VALU_DEP_2)
	v_fma_f16 v112, v21, 0xb8d2, -v111
	v_fmac_f16_e32 v111, 0xb8d2, v21
	v_add_f16_e32 v79, v112, v79
	v_sub_f16_e64 v112, v199, v129
	s_delay_alu instid0(VALU_DEP_1) | instskip(NEXT) | instid1(VALU_DEP_1)
	v_mul_f16_e32 v113, 0x3b29, v112
	v_fma_f16 v64, v68, 0x3722, -v113
	v_fmac_f16_e32 v113, 0x3722, v68
	s_delay_alu instid0(VALU_DEP_2) | instskip(SKIP_1) | instid1(VALU_DEP_1)
	v_add_f16_e32 v64, v64, v79
	v_sub_f16_e64 v79, v32, v222
	v_mul_f16_e32 v76, 0xbbb2, v79
	s_delay_alu instid0(VALU_DEP_1) | instskip(SKIP_1) | instid1(VALU_DEP_2)
	v_fma_f16 v78, v23, 0xb461, -v76
	v_fmac_f16_e32 v76, 0xb461, v23
	v_add_f16_e32 v64, v78, v64
	v_fma_f16 v78, v96, 0xb8d2, -v97
	v_sub_f16_e64 v97, v132, v203
	s_delay_alu instid0(VALU_DEP_2) | instskip(NEXT) | instid1(VALU_DEP_2)
	v_add_f16_e32 v78, v78, v20
	v_mul_f16_e32 v114, 0x3bf7, v97
	s_delay_alu instid0(VALU_DEP_1) | instskip(SKIP_1) | instid1(VALU_DEP_2)
	v_fma_f16 v20, v65, 0x2de8, -v114
	v_fmac_f16_e32 v114, 0x2de8, v65
	v_add_f16_e32 v19, v20, v64
	v_add_f16_e32 v64, v103, v80
	v_fma_f16 v80, v98, 0x3722, -v99
	v_mov_b32_e32 v20, v142
	scratch_store_b32 off, v19, off offset:184 ; 4-byte Folded Spill
	v_add_f16_e32 v64, v105, v64
	v_add_f16_e32 v78, v80, v78
	v_fma_f16 v80, v100, 0xb461, -v101
	v_mul_f16_e32 v101, 0x3722, v93
	v_mul_f16_e32 v105, 0x2de8, v94
	v_add_f16_e32 v64, v107, v64
	s_delay_alu instid0(VALU_DEP_4) | instskip(SKIP_3) | instid1(VALU_DEP_3)
	v_add_f16_e32 v78, v80, v78
	v_mul_f16_e32 v80, 0xbacd, v86
	v_fmamk_f16 v103, v74, 0xbb29, v101
	v_fmac_f16_e32 v101, 0x3b29, v74
	v_fmamk_f16 v99, v62, 0x3836, v80
	v_fmac_f16_e32 v80, 0xb836, v62
	s_delay_alu instid0(VALU_DEP_2) | instskip(NEXT) | instid1(VALU_DEP_2)
	v_add_f16_e64 v99, v196, v99
	v_add_f16_e64 v80, v196, v80
	s_delay_alu instid0(VALU_DEP_2) | instskip(SKIP_2) | instid1(VALU_DEP_4)
	v_add_f16_e32 v99, v103, v99
	v_add_f16_e32 v103, v111, v64
	v_fma_f16 v64, v109, 0x2de8, -v108
	v_add_f16_e32 v80, v101, v80
	s_delay_alu instid0(VALU_DEP_2)
	v_add_f16_e32 v19, v64, v78
	v_fmamk_f16 v78, v63, 0x3bf7, v105
	v_dual_mov_b32 v64, v173 :: v_dual_mov_b32 v173, v172
	v_mov_b32_e32 v172, v184
	scratch_store_b32 off, v19, off offset:188 ; 4-byte Folded Spill
	v_add_f16_e32 v78, v78, v99
	v_add_f16_e32 v99, v113, v103
	v_mul_f16_e32 v103, 0xb8d2, v95
	v_mov_b32_e32 v184, v145
	v_fmac_f16_e32 v105, 0xbbf7, v63
	s_delay_alu instid0(VALU_DEP_4) | instskip(NEXT) | instid1(VALU_DEP_4)
	v_add_f16_e32 v76, v76, v99
	v_fmamk_f16 v107, v24, 0xba62, v103
	v_mul_f16_e32 v99, 0x3b76, v96
	s_delay_alu instid0(VALU_DEP_4)
	v_add_f16_e32 v80, v105, v80
	v_fmac_f16_e32 v103, 0x3a62, v24
	v_add_f16_e32 v19, v114, v76
	v_add_f16_e32 v78, v107, v78
	v_fmamk_f16 v107, v69, 0x35c8, v99
	v_mov_b32_e32 v76, v130
	v_mov_b32_e32 v130, v191
	scratch_store_b32 off, v19, off offset:192 ; 4-byte Folded Spill
	v_add_f16_e32 v80, v103, v80
	v_add_f16_e32 v78, v107, v78
	v_mul_f16_e32 v107, 0xbbdd, v98
	v_fmac_f16_e32 v99, 0xb5c8, v69
	v_mov_b32_e32 v191, v153
	s_delay_alu instid0(VALU_DEP_3) | instskip(NEXT) | instid1(VALU_DEP_3)
	v_fmamk_f16 v108, v72, 0x31e1, v107
	v_add_f16_e32 v80, v99, v80
	v_fmac_f16_e32 v107, 0xb1e1, v72
	s_delay_alu instid0(VALU_DEP_3) | instskip(SKIP_1) | instid1(VALU_DEP_3)
	v_add_f16_e32 v78, v108, v78
	v_mul_f16_e32 v108, 0x3b29, v102
	v_add_f16_e32 v80, v107, v80
	s_delay_alu instid0(VALU_DEP_2) | instskip(SKIP_1) | instid1(VALU_DEP_2)
	v_fmamk_f16 v111, v73, 0x3722, v108
	v_fma_f16 v103, v73, 0x3722, -v108
	v_add_f16_e32 v81, v111, v81
	v_mul_f16_e32 v111, 0x39e9, v100
	s_delay_alu instid0(VALU_DEP_3) | instskip(NEXT) | instid1(VALU_DEP_2)
	v_add_f16_e32 v90, v103, v90
	v_fmamk_f16 v113, v70, 0xb964, v111
	v_fmac_f16_e32 v111, 0x3964, v70
	s_delay_alu instid0(VALU_DEP_2) | instskip(SKIP_1) | instid1(VALU_DEP_3)
	v_add_f16_e32 v78, v113, v78
	v_mul_f16_e32 v113, 0xbbf7, v104
	v_add_f16_e32 v80, v111, v80
	s_delay_alu instid0(VALU_DEP_2) | instskip(SKIP_1) | instid1(VALU_DEP_2)
	v_fmamk_f16 v114, v61, 0x2de8, v113
	v_fma_f16 v99, v61, 0x2de8, -v113
	v_add_f16_e32 v81, v114, v81
	v_mul_f16_e32 v114, 0x3a62, v106
	s_delay_alu instid0(VALU_DEP_3) | instskip(NEXT) | instid1(VALU_DEP_2)
	v_add_f16_e32 v90, v99, v90
	v_fmamk_f16 v116, v66, 0xb8d2, v114
	v_fma_f16 v99, v66, 0xb8d2, -v114
	s_delay_alu instid0(VALU_DEP_2) | instskip(SKIP_1) | instid1(VALU_DEP_3)
	v_add_f16_e32 v81, v116, v81
	v_mul_f16_e32 v116, 0xb5c8, v110
	v_add_f16_e32 v90, v99, v90
	s_delay_alu instid0(VALU_DEP_2) | instskip(SKIP_1) | instid1(VALU_DEP_2)
	v_fmamk_f16 v118, v21, 0x3b76, v116
	v_fma_f16 v103, v21, 0x3b76, -v116
	v_add_f16_e32 v81, v118, v81
	v_mul_f16_e32 v118, 0xb8d2, v86
	s_delay_alu instid0(VALU_DEP_3) | instskip(NEXT) | instid1(VALU_DEP_2)
	v_add_f16_e32 v90, v103, v90
	v_fmamk_f16 v121, v62, 0x3a62, v118
	v_fmac_f16_e32 v118, 0xba62, v62
	s_delay_alu instid0(VALU_DEP_2) | instskip(NEXT) | instid1(VALU_DEP_2)
	v_add_f16_e64 v121, v196, v121
	v_add_f16_e64 v99, v196, v118
	s_delay_alu instid0(VALU_DEP_2) | instskip(SKIP_1) | instid1(VALU_DEP_3)
	v_add_f16_e32 v121, v123, v121
	v_mul_f16_e32 v123, 0xb1e1, v112
	v_add_f16_e32 v99, v122, v99
	s_delay_alu instid0(VALU_DEP_2) | instskip(SKIP_1) | instid1(VALU_DEP_2)
	v_fma_f16 v133, 0xbbdd, v68, v123
	v_fma_f16 v103, v68, 0xbbdd, -v123
	v_add_f16_e64 v81, v133, v81
	v_mul_f16_e64 v133, 0x3b76, v94
	s_delay_alu instid0(VALU_DEP_3) | instskip(NEXT) | instid1(VALU_DEP_2)
	v_add_f16_e32 v90, v103, v90
	v_fma_f16 v206, 0x35c8, v63, v133
	v_fmac_f16_e64 v133, 0xb5c8, v63
	s_delay_alu instid0(VALU_DEP_2) | instskip(SKIP_1) | instid1(VALU_DEP_3)
	v_add_f16_e64 v121, v206, v121
	v_mul_f16_e64 v206, 0xb461, v109
	v_add_f16_e64 v99, v133, v99
	s_delay_alu instid0(VALU_DEP_2) | instskip(SKIP_1) | instid1(VALU_DEP_2)
	v_fma_f16 v207, 0x3bb2, v71, v206
	v_fmac_f16_e64 v206, 0xbbb2, v71
	v_add_f16_e64 v19, v207, v78
	v_mul_f16_e64 v207, 0x3964, v79
	v_mov_b32_e32 v78, v128
	v_mov_b32_e32 v128, v58
	;; [unrolled: 1-line block ×3, first 2 shown]
	scratch_store_b32 off, v19, off offset:196 ; 4-byte Folded Spill
	v_fma_f16 v208, 0x39e9, v23, v207
	v_mov_b32_e32 v188, v149
	v_fma_f16 v103, v23, 0x39e9, -v207
	v_add_f16_e64 v80, v206, v80
	s_delay_alu instid0(VALU_DEP_4) | instskip(SKIP_1) | instid1(VALU_DEP_4)
	v_add_f16_e64 v81, v208, v81
	v_mul_f16_e64 v208, 0xbacd, v95
	v_add_f16_e32 v90, v103, v90
	s_delay_alu instid0(VALU_DEP_2) | instskip(SKIP_1) | instid1(VALU_DEP_2)
	v_fma_f16 v209, 0x3836, v24, v208
	v_fmac_f16_e64 v208, 0xb836, v24
	v_add_f16_e64 v121, v209, v121
	v_mul_f16_e64 v209, 0x2de8, v96
	s_delay_alu instid0(VALU_DEP_3) | instskip(NEXT) | instid1(VALU_DEP_2)
	v_add_f16_e64 v99, v208, v99
	v_fma_f16 v210, 0xbbf7, v69, v209
	v_fmac_f16_e64 v209, 0x3bf7, v69
	s_delay_alu instid0(VALU_DEP_2) | instskip(SKIP_1) | instid1(VALU_DEP_3)
	v_add_f16_e64 v121, v210, v121
	v_mul_f16_e64 v210, 0x39e9, v98
	v_add_f16_e64 v99, v209, v99
	s_delay_alu instid0(VALU_DEP_2) | instskip(SKIP_1) | instid1(VALU_DEP_2)
	v_fma_f16 v211, 0x3964, v72, v210
	v_fmac_f16_e64 v210, 0xb964, v72
	v_add_f16_e64 v121, v211, v121
	v_mul_f16_e64 v211, 0x3bb2, v102
	s_delay_alu instid0(VALU_DEP_3) | instskip(NEXT) | instid1(VALU_DEP_2)
	v_add_f16_e64 v99, v210, v99
	v_fma_f16 v212, 0xb461, v73, v211
	v_fma_f16 v103, v73, 0xb461, -v211
	s_delay_alu instid0(VALU_DEP_2) | instskip(SKIP_1) | instid1(VALU_DEP_3)
	v_add_f16_e64 v82, v212, v82
	v_mul_f16_e64 v212, 0xbbb2, v97
	v_add_f16_e32 v91, v103, v91
	s_delay_alu instid0(VALU_DEP_2) | instskip(NEXT) | instid1(VALU_DEP_1)
	v_fma_f16 v213, 0xb461, v65, v212
	v_add_f16_e64 v19, v213, v81
	v_mul_f16_e64 v213, 0xbbdd, v100
	scratch_store_b32 off, v19, off offset:200 ; 4-byte Folded Spill
	v_fma_f16 v214, 0x31e1, v70, v213
	v_fmac_f16_e64 v213, 0xb1e1, v70
	s_delay_alu instid0(VALU_DEP_2) | instskip(SKIP_1) | instid1(VALU_DEP_3)
	v_add_f16_e64 v121, v214, v121
	v_mul_f16_e64 v214, 0xb5c8, v104
	v_add_f16_e64 v99, v213, v99
	s_delay_alu instid0(VALU_DEP_2) | instskip(SKIP_1) | instid1(VALU_DEP_2)
	v_fma_f16 v215, 0x3b76, v61, v214
	v_fma_f16 v103, v61, 0x3b76, -v214
	v_add_f16_e64 v82, v215, v82
	v_mul_f16_e64 v215, 0xb836, v106
	s_delay_alu instid0(VALU_DEP_3) | instskip(SKIP_1) | instid1(VALU_DEP_3)
	v_add_f16_e32 v91, v103, v91
	v_fma_f16 v103, v65, 0xb461, -v212
	v_fma_f16 v216, 0xbacd, v66, v215
	s_delay_alu instid0(VALU_DEP_2) | instskip(SKIP_1) | instid1(VALU_DEP_3)
	v_add_f16_e32 v90, v103, v90
	v_fma_f16 v103, v66, 0xbacd, -v215
	v_add_f16_e64 v82, v216, v82
	v_mul_f16_e64 v216, 0x3bf7, v110
	s_delay_alu instid0(VALU_DEP_3) | instskip(NEXT) | instid1(VALU_DEP_2)
	v_add_f16_e32 v91, v103, v91
	v_fma_f16 v217, 0x2de8, v21, v216
	v_fma_f16 v105, v21, 0x2de8, -v216
	s_delay_alu instid0(VALU_DEP_2) | instskip(SKIP_1) | instid1(VALU_DEP_3)
	v_add_f16_e64 v82, v217, v82
	v_mul_f16_e64 v217, 0xb461, v86
	v_add_f16_e32 v91, v105, v91
	s_delay_alu instid0(VALU_DEP_2) | instskip(SKIP_1) | instid1(VALU_DEP_2)
	v_fma_f16 v218, 0x3bb2, v62, v217
	v_fmac_f16_e64 v217, 0xbbb2, v62
	v_add_f16_e64 v218, v196, v218
	s_delay_alu instid0(VALU_DEP_2) | instskip(NEXT) | instid1(VALU_DEP_2)
	v_add_f16_e64 v103, v196, v217
	v_add_f16_e64 v218, v220, v218
	v_mul_f16_e64 v220, 0xb964, v112
	s_delay_alu instid0(VALU_DEP_3) | instskip(NEXT) | instid1(VALU_DEP_2)
	v_add_f16_e64 v103, v219, v103
	v_fma_f16 v221, 0x39e9, v68, v220
	v_fma_f16 v105, v68, 0x39e9, -v220
	s_delay_alu instid0(VALU_DEP_2) | instskip(SKIP_1) | instid1(VALU_DEP_3)
	v_add_f16_e64 v82, v221, v82
	v_mul_f16_e64 v221, 0x39e9, v94
	v_add_f16_e32 v91, v105, v91
	s_delay_alu instid0(VALU_DEP_2) | instskip(SKIP_1) | instid1(VALU_DEP_2)
	v_fma_f16 v222, 0xb964, v63, v221
	v_fmac_f16_e64 v221, 0x3964, v63
	v_add_f16_e64 v218, v222, v218
	v_mul_f16_e64 v222, 0x3722, v109
	s_delay_alu instid0(VALU_DEP_3) | instskip(NEXT) | instid1(VALU_DEP_2)
	v_add_f16_e64 v103, v221, v103
	v_fma_f16 v223, 0xbb29, v71, v222
	v_fmac_f16_e64 v222, 0x3b29, v71
	s_delay_alu instid0(VALU_DEP_2) | instskip(SKIP_2) | instid1(VALU_DEP_4)
	v_add_f16_e64 v19, v223, v121
	v_mul_f16_e64 v223, 0xb1e1, v79
	v_mov_b32_e32 v121, v137
	v_add_f16_e64 v99, v222, v99
	scratch_store_b32 off, v19, off offset:204 ; 4-byte Folded Spill
	v_fma_f16 v224, 0xbbdd, v23, v223
	s_delay_alu instid0(VALU_DEP_1) | instskip(SKIP_1) | instid1(VALU_DEP_1)
	v_add_f16_e64 v82, v224, v82
	v_mul_f16_e64 v224, 0x3722, v95
	v_fma_f16 v225, 0x3b29, v24, v224
	v_fmac_f16_e64 v224, 0xbb29, v24
	s_delay_alu instid0(VALU_DEP_2) | instskip(SKIP_1) | instid1(VALU_DEP_3)
	v_add_f16_e64 v218, v225, v218
	v_mul_f16_e64 v225, 0xbbdd, v96
	v_add_f16_e64 v103, v224, v103
	s_delay_alu instid0(VALU_DEP_2) | instskip(SKIP_1) | instid1(VALU_DEP_2)
	v_fma_f16 v226, 0x31e1, v69, v225
	v_fmac_f16_e64 v225, 0xb1e1, v69
	v_add_f16_e64 v218, v226, v218
	v_mul_f16_e64 v226, 0x2de8, v98
	s_delay_alu instid0(VALU_DEP_3) | instskip(NEXT) | instid1(VALU_DEP_2)
	v_add_f16_e64 v103, v225, v103
	v_fma_f16 v227, 0xbbf7, v72, v226
	v_fmac_f16_e64 v226, 0x3bf7, v72
	s_delay_alu instid0(VALU_DEP_2) | instskip(SKIP_1) | instid1(VALU_DEP_3)
	v_add_f16_e64 v218, v227, v218
	v_mul_f16_e64 v227, 0x3836, v102
	v_add_f16_e64 v103, v226, v103
	s_delay_alu instid0(VALU_DEP_2) | instskip(SKIP_1) | instid1(VALU_DEP_2)
	v_fma_f16 v228, 0xbacd, v73, v227
	v_fma_f16 v105, v73, 0xbacd, -v227
	v_add_f16_e64 v83, v228, v83
	v_mul_f16_e64 v228, 0x3b29, v97
	s_delay_alu instid0(VALU_DEP_3) | instskip(SKIP_1) | instid1(VALU_DEP_3)
	v_add_f16_e32 v92, v105, v92
	v_fma_f16 v105, v23, 0xbbdd, -v223
	v_fma_f16 v229, 0x3722, v65, v228
	s_delay_alu instid0(VALU_DEP_2) | instskip(NEXT) | instid1(VALU_DEP_2)
	v_add_f16_e32 v91, v105, v91
	v_add_f16_e64 v19, v229, v82
	v_mul_f16_e64 v229, 0x3b76, v100
	v_dual_mov_b32 v82, v44 :: v_dual_mov_b32 v81, v43
	v_dual_mov_b32 v44, v175 :: v_dual_mov_b32 v175, v136
	s_delay_alu instid0(VALU_DEP_3) | instskip(SKIP_4) | instid1(VALU_DEP_3)
	v_fma_f16 v230, 0x35c8, v70, v229
	scratch_store_b32 off, v19, off offset:208 ; 4-byte Folded Spill
	v_fmac_f16_e64 v229, 0xb5c8, v70
	v_add_f16_e64 v218, v230, v218
	v_mul_f16_e64 v230, 0x3964, v104
	v_add_f16_e64 v103, v229, v103
	s_delay_alu instid0(VALU_DEP_2) | instskip(SKIP_1) | instid1(VALU_DEP_2)
	v_fma_f16 v231, 0x39e9, v61, v230
	v_fma_f16 v105, v61, 0x39e9, -v230
	v_add_f16_e64 v83, v231, v83
	v_mul_f16_e64 v231, 0xbb29, v106
	s_delay_alu instid0(VALU_DEP_3) | instskip(NEXT) | instid1(VALU_DEP_2)
	v_add_f16_e32 v92, v105, v92
	v_fma_f16 v232, 0x3722, v66, v231
	v_fma_f16 v105, v66, 0x3722, -v231
	s_delay_alu instid0(VALU_DEP_2) | instskip(SKIP_1) | instid1(VALU_DEP_3)
	v_add_f16_e64 v83, v232, v83
	v_mul_f16_e64 v232, 0xb1e1, v110
	v_add_f16_e32 v92, v105, v92
	v_fma_f16 v105, v65, 0x3722, -v228
	s_delay_alu instid0(VALU_DEP_3) | instskip(NEXT) | instid1(VALU_DEP_2)
	v_fma_f16 v233, 0xbbdd, v21, v232
	v_add_f16_e32 v91, v105, v91
	v_fma_f16 v105, v21, 0xbbdd, -v232
	s_delay_alu instid0(VALU_DEP_3) | instskip(SKIP_1) | instid1(VALU_DEP_3)
	v_add_f16_e64 v83, v233, v83
	v_mul_f16_e64 v233, 0x2de8, v86
	v_add_f16_e32 v92, v105, v92
	s_delay_alu instid0(VALU_DEP_2) | instskip(SKIP_1) | instid1(VALU_DEP_2)
	v_fma_f16 v234, 0x3bf7, v62, v233
	v_fmac_f16_e64 v233, 0xbbf7, v62
	v_add_f16_e64 v234, v196, v234
	s_delay_alu instid0(VALU_DEP_2) | instskip(NEXT) | instid1(VALU_DEP_2)
	v_add_f16_e64 v105, v196, v233
	v_add_f16_e64 v234, v236, v234
	v_mul_f16_e64 v236, 0x3bf7, v112
	s_delay_alu instid0(VALU_DEP_3) | instskip(NEXT) | instid1(VALU_DEP_2)
	v_add_f16_e64 v105, v235, v105
	v_fma_f16 v237, 0x2de8, v68, v236
	v_fma_f16 v107, v68, 0x2de8, -v236
	s_delay_alu instid0(VALU_DEP_2) | instskip(SKIP_1) | instid1(VALU_DEP_3)
	v_add_f16_e64 v83, v237, v83
	v_mul_f16_e64 v237, 0xb461, v94
	v_add_f16_e32 v92, v107, v92
	s_delay_alu instid0(VALU_DEP_2) | instskip(SKIP_1) | instid1(VALU_DEP_2)
	v_fma_f16 v238, 0xbbb2, v63, v237
	v_fmac_f16_e64 v237, 0x3bb2, v63
	v_add_f16_e64 v234, v238, v234
	v_mul_f16_e64 v238, 0xb8d2, v109
	s_delay_alu instid0(VALU_DEP_3) | instskip(NEXT) | instid1(VALU_DEP_2)
	v_add_f16_e64 v105, v237, v105
	v_fma_f16 v239, 0x3a62, v71, v238
	v_fmac_f16_e64 v238, 0xba62, v71
	s_delay_alu instid0(VALU_DEP_2)
	v_add_f16_e64 v19, v239, v218
	v_mul_f16_e64 v239, 0xb5c8, v79
	v_mov_b32_e32 v218, v174
	v_dual_mov_b32 v174, v189 :: v_dual_mov_b32 v189, v151
	scratch_store_b32 off, v19, off offset:212 ; 4-byte Folded Spill
	v_fma_f16 v240, 0x3b76, v23, v239
	v_fma_f16 v107, v23, 0x3b76, -v239
	v_add_f16_e64 v103, v238, v103
	s_delay_alu instid0(VALU_DEP_3) | instskip(SKIP_1) | instid1(VALU_DEP_4)
	v_add_f16_e64 v83, v240, v83
	v_mul_f16_e64 v240, 0x3b76, v95
	v_add_f16_e32 v92, v107, v92
	s_delay_alu instid0(VALU_DEP_2) | instskip(SKIP_1) | instid1(VALU_DEP_2)
	v_fma_f16 v241, 0xb5c8, v24, v240
	v_fmac_f16_e64 v240, 0x35c8, v24
	v_add_f16_e64 v234, v241, v234
	v_mul_f16_e64 v241, 0x3722, v96
	s_delay_alu instid0(VALU_DEP_3) | instskip(NEXT) | instid1(VALU_DEP_2)
	v_add_f16_e64 v105, v240, v105
	v_fma_f16 v242, 0x3b29, v69, v241
	v_fmac_f16_e64 v241, 0xbb29, v69
	s_delay_alu instid0(VALU_DEP_2) | instskip(SKIP_1) | instid1(VALU_DEP_3)
	v_add_f16_e64 v234, v242, v234
	v_mul_f16_e64 v242, 0xbacd, v98
	v_add_f16_e64 v105, v241, v105
	s_delay_alu instid0(VALU_DEP_2) | instskip(SKIP_1) | instid1(VALU_DEP_2)
	v_fma_f16 v243, 0x3836, v72, v242
	v_fmac_f16_e64 v242, 0xb836, v72
	v_add_f16_e64 v234, v243, v234
	v_mul_f16_e64 v243, 0xb1e1, v102
	s_delay_alu instid0(VALU_DEP_3) | instskip(NEXT) | instid1(VALU_DEP_2)
	v_add_f16_e64 v105, v242, v105
	v_fma_f16 v244, 0xbbdd, v73, v243
	v_fma_f16 v107, v73, 0xbbdd, -v243
	s_delay_alu instid0(VALU_DEP_2) | instskip(SKIP_1) | instid1(VALU_DEP_3)
	v_add_f16_e64 v84, v244, v84
	v_mul_f16_e64 v244, 0xba62, v97
	v_add_f16_e32 v77, v107, v77
	s_delay_alu instid0(VALU_DEP_2) | instskip(NEXT) | instid1(VALU_DEP_1)
	v_fma_f16 v245, 0xb8d2, v65, v244
	v_add_f16_e64 v19, v245, v83
	v_mul_f16_e64 v245, 0xb8d2, v100
	v_mov_b32_e32 v83, v135
	scratch_store_b32 off, v19, off offset:216 ; 4-byte Folded Spill
	v_fma_f16 v246, 0xba62, v70, v245
	v_fmac_f16_e64 v245, 0x3a62, v70
	s_delay_alu instid0(VALU_DEP_2) | instskip(SKIP_1) | instid1(VALU_DEP_3)
	v_add_f16_e64 v234, v246, v234
	v_mul_f16_e64 v246, 0x3bb2, v104
	v_add_f16_e64 v105, v245, v105
	s_delay_alu instid0(VALU_DEP_2) | instskip(SKIP_1) | instid1(VALU_DEP_2)
	v_fma_f16 v247, 0xb461, v61, v246
	v_fma_f16 v107, v61, 0xb461, -v246
	v_add_f16_e64 v84, v247, v84
	v_mul_f16_e64 v247, 0x35c8, v106
	s_delay_alu instid0(VALU_DEP_3) | instskip(NEXT) | instid1(VALU_DEP_2)
	v_add_f16_e32 v77, v107, v77
	v_fma_f16 v248, 0x3b76, v66, v247
	v_fma_f16 v107, v66, 0x3b76, -v247
	s_delay_alu instid0(VALU_DEP_2) | instskip(SKIP_1) | instid1(VALU_DEP_3)
	v_add_f16_e64 v84, v248, v84
	v_mul_f16_e64 v248, 0xbb29, v110
	v_add_f16_e32 v77, v107, v77
	s_delay_alu instid0(VALU_DEP_2) | instskip(SKIP_1) | instid1(VALU_DEP_2)
	v_fma_f16 v249, 0x3722, v21, v248
	v_fma_f16 v108, v21, 0x3722, -v248
	v_add_f16_e64 v84, v249, v84
	v_mul_f16_e64 v249, 0x3722, v86
	s_delay_alu instid0(VALU_DEP_3) | instskip(SKIP_1) | instid1(VALU_DEP_3)
	v_add_f16_e32 v77, v108, v77
	v_fma_f16 v108, v65, 0xb8d2, -v244
	v_fma_f16 v250, 0x3b29, v62, v249
	v_fmac_f16_e64 v249, 0xbb29, v62
	s_delay_alu instid0(VALU_DEP_3) | instskip(NEXT) | instid1(VALU_DEP_3)
	v_add_f16_e32 v92, v108, v92
	v_add_f16_e64 v250, v196, v250
	s_delay_alu instid0(VALU_DEP_3) | instskip(NEXT) | instid1(VALU_DEP_2)
	v_add_f16_e64 v107, v196, v249
	v_add_f16_e64 v250, v252, v250
	v_mul_f16_e64 v252, 0xb836, v112
	s_delay_alu instid0(VALU_DEP_3) | instskip(NEXT) | instid1(VALU_DEP_2)
	v_add_f16_e64 v107, v251, v107
	v_fma_f16 v253, 0xbacd, v68, v252
	v_fma_f16 v108, v68, 0xbacd, -v252
	s_delay_alu instid0(VALU_DEP_2) | instskip(SKIP_1) | instid1(VALU_DEP_3)
	v_add_f16_e64 v84, v253, v84
	v_mul_f16_e64 v253, 0xbbdd, v94
	v_add_f16_e32 v77, v108, v77
	s_delay_alu instid0(VALU_DEP_2) | instskip(SKIP_1) | instid1(VALU_DEP_2)
	v_fma_f16 v254, 0xb1e1, v63, v253
	v_fmac_f16_e64 v253, 0x31e1, v63
	v_add_f16_e64 v250, v254, v250
	v_mul_f16_e64 v254, 0x39e9, v109
	s_delay_alu instid0(VALU_DEP_3) | instskip(NEXT) | instid1(VALU_DEP_2)
	v_add_f16_e64 v107, v253, v107
	v_fma_f16 v255, 0xb964, v71, v254
	v_fmac_f16_e64 v254, 0x3964, v71
	s_delay_alu instid0(VALU_DEP_2)
	v_add_f16_e64 v19, v255, v234
	v_mul_f16_e64 v255, 0x3a62, v79
	v_dual_mov_b32 v234, v169 :: v_dual_mov_b32 v169, v127
	v_mov_b32_e32 v127, v57
	scratch_store_b32 off, v19, off offset:220 ; 4-byte Folded Spill
	v_fma_f16 v124, 0xb8d2, v23, v255
	v_mov_b32_e32 v57, v187
	v_mov_b32_e32 v187, v148
	v_fma_f16 v111, v23, 0xb8d2, -v255
	v_add_f16_e64 v105, v254, v105
	v_add_f16_e32 v84, v124, v84
	v_mul_f16_e32 v124, 0xb461, v95
	s_delay_alu instid0(VALU_DEP_4) | instskip(NEXT) | instid1(VALU_DEP_2)
	v_add_f16_e32 v77, v111, v77
	v_fma_f16 v134, 0xbbb2, v24, v124
	v_fmac_f16_e32 v124, 0x3bb2, v24
	s_delay_alu instid0(VALU_DEP_2) | instskip(SKIP_1) | instid1(VALU_DEP_3)
	v_add_f16_e64 v134, v134, v250
	v_mul_f16_e64 v250, 0x39e9, v96
	v_add_f16_e32 v107, v124, v107
	s_delay_alu instid0(VALU_DEP_2) | instskip(SKIP_1) | instid1(VALU_DEP_2)
	v_fma_f16 v135, 0xb964, v69, v250
	v_fmac_f16_e64 v250, 0x3964, v69
	v_add_f16_e64 v134, v135, v134
	v_mul_f16_e64 v135, 0x3b76, v98
	s_delay_alu instid0(VALU_DEP_3) | instskip(NEXT) | instid1(VALU_DEP_2)
	v_add_f16_e64 v107, v250, v107
	v_fma_f16 v136, 0x35c8, v72, v135
	v_fmac_f16_e64 v135, 0xb5c8, v72
	s_delay_alu instid0(VALU_DEP_2) | instskip(SKIP_1) | instid1(VALU_DEP_3)
	v_add_f16_e64 v134, v136, v134
	v_mul_f16_e64 v136, 0xba62, v102
	v_add_f16_e64 v107, v135, v107
	v_mov_b32_e32 v135, v83
	s_delay_alu instid0(VALU_DEP_3) | instskip(SKIP_2) | instid1(VALU_DEP_3)
	v_fma_f16 v137, 0xb8d2, v73, v136
	v_fma_f16 v108, v73, 0xb8d2, -v136
	v_dual_mov_b32 v136, v175 :: v_dual_mov_b32 v175, v44
	v_add_f16_e64 v85, v137, v85
	v_mul_f16_e64 v137, 0x3964, v97
	s_delay_alu instid0(VALU_DEP_4) | instskip(NEXT) | instid1(VALU_DEP_2)
	v_add_f16_e32 v75, v108, v75
	v_fma_f16 v138, 0x39e9, v65, v137
	s_delay_alu instid0(VALU_DEP_1)
	v_add_f16_e64 v19, v138, v84
	v_mul_f16_e64 v138, 0x2de8, v100
	v_mov_b32_e32 v84, v167
	scratch_store_b32 off, v19, off offset:228 ; 4-byte Folded Spill
	v_fma_f16 v139, 0x3bf7, v70, v138
	s_clause 0x3
	scratch_store_b32 off, v194, off offset:156
	scratch_store_b32 off, v193, off offset:160
	;; [unrolled: 1-line block ×4, first 2 shown]
	v_mov_b32_e32 v19, v144
	v_mul_f16_e64 v144, 0x2de8, v93
	v_mov_b32_e32 v190, v152
	v_add_f16_e64 v134, v139, v134
	v_mul_f16_e64 v139, 0x31e1, v104
	scratch_store_b32 off, v155, off offset:168 ; 4-byte Folded Spill
	v_fma_f16 v145, 0x3bf7, v74, v144
	v_dual_mov_b32 v193, v156 :: v_dual_mov_b32 v194, v157
	v_fma_f16 v140, 0xbbdd, v61, v139
	v_mul_f16_e32 v93, 0x39e9, v93
	v_fma_f16 v111, v61, 0xbbdd, -v139
	v_mov_b32_e32 v139, v22
	v_fmac_f16_e64 v144, 0xbbf7, v74
	v_add_f16_e64 v85, v140, v85
	v_mul_f16_e64 v140, 0x3bb2, v106
	v_fma_f16 v167, 0x3964, v74, v93
	v_add_f16_e32 v75, v111, v75
	v_fmac_f16_e64 v138, 0xbbf7, v70
	v_fmac_f16_e32 v93, 0xb964, v74
	v_fma_f16 v141, 0xb461, v66, v140
	v_fma_f16 v111, v66, 0xb461, -v140
	v_mov_b32_e32 v140, v50
	v_add_f16_e64 v107, v138, v107
	s_delay_alu instid0(VALU_DEP_4) | instskip(SKIP_2) | instid1(VALU_DEP_2)
	v_add_f16_e64 v85, v141, v85
	v_mul_f16_e64 v141, 0x3964, v110
	v_add_f16_e32 v75, v111, v75
	v_fma_f16 v142, 0x39e9, v21, v141
	v_fma_f16 v111, v21, 0x39e9, -v141
	v_mov_b32_e32 v141, v67
	s_delay_alu instid0(VALU_DEP_3)
	v_add_f16_e64 v85, v142, v85
	v_mul_f16_e64 v142, 0x39e9, v86
	v_mul_f16_e32 v86, 0x3b76, v86
	v_add_f16_e32 v75, v111, v75
	v_fma_f16 v111, v65, 0x39e9, -v137
	v_mov_b32_e32 v137, v121
	v_fma_f16 v143, 0x3964, v62, v142
	v_fmac_f16_e64 v142, 0xb964, v62
	s_delay_alu instid0(VALU_DEP_4) | instskip(NEXT) | instid1(VALU_DEP_3)
	v_add_f16_e32 v77, v111, v77
	v_add_f16_e64 v143, v196, v143
	s_delay_alu instid0(VALU_DEP_3) | instskip(SKIP_1) | instid1(VALU_DEP_3)
	v_add_f16_e64 v108, v196, v142
	v_mov_b32_e32 v142, v20
	v_add_f16_e64 v143, v145, v143
	v_mul_f16_e64 v145, 0xb5c8, v112
	s_delay_alu instid0(VALU_DEP_4) | instskip(SKIP_1) | instid1(VALU_DEP_3)
	v_add_f16_e64 v108, v144, v108
	v_mov_b32_e32 v144, v19
	v_fma_f16 v146, 0x3b76, v68, v145
	v_fma_f16 v111, v68, 0x3b76, -v145
	v_dual_mov_b32 v145, v184 :: v_dual_mov_b32 v184, v172
	s_delay_alu instid0(VALU_DEP_3) | instskip(SKIP_3) | instid1(VALU_DEP_3)
	v_add_f16_e64 v85, v146, v85
	v_mul_f16_e64 v146, 0xb8d2, v94
	v_mul_f16_e32 v94, 0x3722, v94
	v_add_f16_e32 v75, v111, v75
	v_fma_f16 v147, 0x3a62, v63, v146
	v_fmac_f16_e64 v146, 0xba62, v63
	s_delay_alu instid0(VALU_DEP_2) | instskip(SKIP_1) | instid1(VALU_DEP_3)
	v_add_f16_e64 v143, v147, v143
	v_mul_f16_e64 v147, 0xbacd, v109
	v_add_f16_e64 v108, v146, v108
	v_mov_b32_e32 v146, v55
	s_delay_alu instid0(VALU_DEP_3) | instskip(SKIP_1) | instid1(VALU_DEP_2)
	v_fma_f16 v148, 0x3836, v71, v147
	v_fmac_f16_e64 v147, 0xb836, v71
	v_add_f16_e64 v43, v148, v134
	v_mul_f16_e64 v148, 0xbbf7, v79
	v_mov_b32_e32 v134, v198
	v_mov_b32_e32 v198, v30
	;; [unrolled: 1-line block ×3, first 2 shown]
	scratch_store_b32 off, v43, off offset:232 ; 4-byte Folded Spill
	v_fma_f16 v149, 0x2de8, v23, v148
	v_fma_f16 v111, v23, 0x2de8, -v148
	v_mov_b32_e32 v148, v187
	v_add_f16_e64 v107, v147, v107
	v_mov_b32_e32 v147, v186
	v_add_f16_e64 v85, v149, v85
	v_mul_f16_e64 v149, 0xbbdd, v95
	v_mul_f16_e32 v95, 0x2de8, v95
	v_add_f16_e32 v75, v111, v75
	v_mov_b32_e32 v187, v57
	s_delay_alu instid0(VALU_DEP_4) | instskip(SKIP_1) | instid1(VALU_DEP_2)
	v_fma_f16 v151, 0x31e1, v24, v149
	v_fmac_f16_e64 v149, 0xb1e1, v24
	v_add_f16_e64 v143, v151, v143
	v_mul_f16_e64 v151, 0xbacd, v96
	v_mul_f16_e32 v96, 0xb461, v96
	s_delay_alu instid0(VALU_DEP_4) | instskip(NEXT) | instid1(VALU_DEP_3)
	v_add_f16_e64 v108, v149, v108
	v_fma_f16 v152, 0xb836, v69, v151
	v_fmac_f16_e64 v151, 0x3836, v69
	s_delay_alu instid0(VALU_DEP_2) | instskip(SKIP_2) | instid1(VALU_DEP_4)
	v_add_f16_e64 v143, v152, v143
	v_mul_f16_e64 v152, 0xb461, v98
	v_mul_f16_e32 v98, 0xb8d2, v98
	v_add_f16_e64 v108, v151, v108
	v_mov_b32_e32 v151, v189
	v_mov_b32_e32 v189, v174
	v_fma_f16 v153, 0xbbb2, v72, v152
	v_mov_b32_e32 v174, v218
	v_fmac_f16_e64 v152, 0x3bb2, v72
	s_delay_alu instid0(VALU_DEP_3) | instskip(SKIP_2) | instid1(VALU_DEP_4)
	v_add_f16_e64 v143, v153, v143
	v_mul_f16_e64 v153, 0xbbf7, v102
	v_mul_f16_e32 v102, 0xb964, v102
	v_add_f16_e64 v108, v152, v108
	s_delay_alu instid0(VALU_DEP_3) | instskip(SKIP_2) | instid1(VALU_DEP_3)
	v_fma_f16 v155, 0x2de8, v73, v153
	v_fma_f16 v74, v73, 0x2de8, -v153
	v_mov_b32_e32 v153, v191
	v_add_f16_e64 v89, v155, v89
	v_mul_f16_e64 v155, 0xb836, v97
	s_delay_alu instid0(VALU_DEP_1) | instskip(NEXT) | instid1(VALU_DEP_1)
	v_fma_f16 v156, 0xbacd, v65, v155
	v_add_f16_e64 v43, v156, v85
	v_mul_f16_e64 v156, 0x3722, v100
	v_mov_b32_e32 v85, v161
	v_mul_f16_e32 v100, 0xbacd, v100
	v_mov_b32_e32 v152, v190
	scratch_store_b32 off, v43, off offset:236 ; 4-byte Folded Spill
	v_fma_f16 v157, 0xbb29, v70, v156
	v_mov_b32_e32 v43, v171
	v_fmac_f16_e64 v156, 0x3b29, v70
	s_delay_alu instid0(VALU_DEP_3) | instskip(SKIP_2) | instid1(VALU_DEP_2)
	v_add_f16_e64 v143, v157, v143
	v_mul_f16_e64 v157, 0xba62, v104
	v_mul_f16_e32 v104, 0xbb29, v104
	v_fma_f16 v159, 0xb8d2, v61, v157
	s_delay_alu instid0(VALU_DEP_1) | instskip(SKIP_2) | instid1(VALU_DEP_2)
	v_add_f16_e64 v89, v159, v89
	v_mul_f16_e64 v159, 0xb1e1, v106
	v_mul_f16_e32 v106, 0xbbf7, v106
	v_fma_f16 v160, 0xbbdd, v66, v159
	s_delay_alu instid0(VALU_DEP_1) | instskip(SKIP_2) | instid1(VALU_DEP_2)
	v_add_f16_e64 v89, v160, v89
	v_mul_f16_e64 v160, 0x3836, v110
	v_mul_f16_e32 v110, 0xbbb2, v110
	v_fma_f16 v161, 0xbacd, v21, v160
	s_delay_alu instid0(VALU_DEP_1) | instskip(SKIP_4) | instid1(VALU_DEP_4)
	v_add_f16_e64 v89, v161, v89
	v_fma_f16 v161, 0x35c8, v62, v86
	v_fmac_f16_e32 v86, 0xb5c8, v62
	v_add_f16_e64 v62, v156, v108
	v_mov_b32_e32 v156, v193
	v_add_f16_e64 v161, v196, v161
	s_delay_alu instid0(VALU_DEP_4) | instskip(NEXT) | instid1(VALU_DEP_2)
	v_add_f16_e64 v86, v196, v86
	v_add_f16_e64 v161, v167, v161
	v_mul_f16_e64 v167, 0x3b76, v109
	v_mul_f16_e32 v109, 0xbbdd, v109
	s_delay_alu instid0(VALU_DEP_2) | instskip(SKIP_1) | instid1(VALU_DEP_2)
	v_fma_f16 v168, 0xb5c8, v71, v167
	v_fmac_f16_e64 v167, 0x35c8, v71
	v_add_f16_e64 v143, v168, v143
	v_mul_f16_e64 v168, 0x3bb2, v112
	v_mul_f16_e32 v112, 0xba62, v112
	s_delay_alu instid0(VALU_DEP_4) | instskip(NEXT) | instid1(VALU_DEP_3)
	v_add_f16_e64 v62, v167, v62
	v_fma_f16 v170, 0xb461, v68, v168
	s_delay_alu instid0(VALU_DEP_1) | instskip(SKIP_3) | instid1(VALU_DEP_3)
	v_add_f16_e64 v89, v170, v89
	v_fma_f16 v170, 0x3b29, v63, v94
	v_fmac_f16_e32 v94, 0xbb29, v63
	v_fma_f16 v63, v73, 0x39e9, -v102
	v_add_f16_e64 v161, v170, v161
	v_fma_f16 v170, 0x3bf7, v24, v95
	v_fmac_f16_e32 v95, 0xbbf7, v24
	v_fma_f16 v24, v61, 0x3722, -v104
	s_delay_alu instid0(VALU_DEP_3) | instskip(SKIP_2) | instid1(VALU_DEP_2)
	v_add_f16_e64 v161, v170, v161
	v_mul_f16_e64 v170, 0x3b29, v79
	v_mul_f16_e32 v79, 0xb836, v79
	v_fma_f16 v171, 0x3722, v23, v170
	s_delay_alu instid0(VALU_DEP_1) | instskip(SKIP_2) | instid1(VALU_DEP_2)
	v_add_f16_e64 v89, v171, v89
	v_fma_f16 v171, 0x3bb2, v69, v96
	v_fmac_f16_e32 v96, 0xbbb2, v69
	v_add_f16_e64 v161, v171, v161
	v_add_f16_e64 v171, v200, v196
	s_delay_alu instid0(VALU_DEP_1) | instskip(SKIP_2) | instid1(VALU_DEP_3)
	v_add_f16_e64 v171, v198, v171
	v_mul_f16_e64 v198, 0x35c8, v97
	v_mul_f16_e32 v97, 0xb1e1, v97
	v_add_f16_e64 v171, v197, v171
	v_fma_f16 v197, 0x3a62, v72, v98
	s_delay_alu instid0(VALU_DEP_3)
	v_fmamk_f16 v101, v65, 0xbbdd, v97
	v_fmac_f16_e32 v98, 0xba62, v72
	v_fma_f16 v200, 0x3b76, v65, v198
	v_add_f16_e64 v171, v29, v171
	v_add_f16_e64 v161, v197, v161
	v_fma_f16 v197, 0x39e9, v73, v102
	v_fma_f16 v73, v61, 0xb8d2, -v157
	v_add_f16_e64 v89, v200, v89
	v_add_f16_e64 v171, v31, v171
	v_mov_b32_e32 v157, v194
	v_add_f16_e64 v87, v197, v87
	v_fma_f16 v197, 0x3836, v70, v100
	v_fmac_f16_e32 v100, 0xb836, v70
	v_add_f16_e64 v171, v199, v171
	s_delay_alu instid0(VALU_DEP_3) | instskip(SKIP_1) | instid1(VALU_DEP_3)
	v_add_f16_e64 v161, v197, v161
	v_fma_f16 v197, 0x3722, v61, v104
	v_add_f16_e64 v171, v32, v171
	v_fma_f16 v61, v66, 0xbbdd, -v159
	s_delay_alu instid0(VALU_DEP_3) | instskip(SKIP_1) | instid1(VALU_DEP_4)
	v_add_f16_e64 v87, v197, v87
	v_fma_f16 v197, 0x2de8, v66, v106
	v_add_f16_e64 v171, v132, v171
	s_delay_alu instid0(VALU_DEP_2) | instskip(SKIP_1) | instid1(VALU_DEP_3)
	v_add_f16_e64 v87, v197, v87
	v_fma_f16 v197, 0xb461, v21, v110
	v_add_f16_e64 v171, v203, v171
	s_delay_alu instid0(VALU_DEP_2) | instskip(NEXT) | instid1(VALU_DEP_2)
	v_add_f16_e64 v87, v197, v87
	v_add_f16_e64 v132, v131, v171
	v_fma_f16 v171, 0xb8d2, v68, v112
	v_fma_f16 v197, 0x31e1, v71, v109
	v_fmac_f16_e32 v109, 0xb1e1, v71
	s_delay_alu instid0(VALU_DEP_4) | instskip(NEXT) | instid1(VALU_DEP_4)
	v_add_f16_e64 v131, v129, v132
	v_add_f16_e64 v87, v171, v87
	v_fma_f16 v132, 0xbacd, v23, v79
	v_mov_b32_e32 v171, v43
	v_mov_b32_e32 v149, v188
	v_add_f16_e64 v129, v202, v131
	v_mov_b32_e32 v188, v58
	v_add_f16_e64 v87, v132, v87
	v_mov_b32_e32 v57, v176
	v_dual_mov_b32 v43, v81 :: v_dual_mov_b32 v186, v56
	v_mov_b32_e32 v167, v84
	s_delay_alu instid0(VALU_DEP_4)
	v_add_f16_e32 v87, v101, v87
	v_add_f16_e64 v101, v128, v129
	v_mov_b32_e32 v128, v78
	scratch_load_b64 v[55:56], off, off offset:136 ; 8-byte Folded Reload
	v_mov_b32_e32 v58, v177
	s_clause 0x1
	scratch_load_b32 v177, off, off offset:148
	scratch_load_b32 v176, off, off offset:132
	v_add_f16_e32 v101, v127, v101
	s_clause 0x1
	scratch_load_b32 v191, off, off offset:152
	scratch_load_b32 v19, off, off offset:180 th:TH_LOAD_LU
	v_add_f16_e64 v161, v197, v161
	v_dual_mov_b32 v44, v82 :: v_dual_mov_b32 v127, v169
	v_mov_b32_e32 v169, v234
	v_add_f16_e32 v101, v126, v101
	v_mov_b32_e32 v126, v165
	s_delay_alu instid0(VALU_DEP_2) | instskip(SKIP_1) | instid1(VALU_DEP_2)
	v_add_f16_e64 v101, v130, v101
	v_mov_b32_e32 v130, v76
	v_pack_b32_f16 v18, v18, v101
	s_wait_loadcnt 0x0
	v_add_f16_e32 v67, v74, v19
	scratch_load_b32 v19, off, off offset:176 th:TH_LOAD_LU ; 4-byte Folded Reload
	v_add_f16_e32 v74, v93, v86
	v_add_f16_e32 v67, v73, v67
	s_delay_alu instid0(VALU_DEP_2) | instskip(NEXT) | instid1(VALU_DEP_2)
	v_add_f16_e32 v73, v94, v74
	v_add_f16_e32 v61, v61, v67
	v_pack_b32_f16 v67, v89, v143
	s_wait_loadcnt 0x0
	v_add_f16_e32 v22, v63, v19
	v_add_f16_e32 v63, v95, v73
	scratch_load_b32 v19, off, off offset:224 th:TH_LOAD_LU ; 4-byte Folded Reload
	v_dual_mov_b32 v172, v173 :: v_dual_mov_b32 v173, v64
	v_add_f16_e32 v22, v24, v22
	v_fma_f16 v24, v66, 0x2de8, -v106
	v_fma_f16 v66, v21, 0xbacd, -v160
	v_add_f16_e32 v63, v96, v63
	v_fma_f16 v21, v21, 0xb461, -v110
	v_pack_b32_f16 v64, v77, v105
	v_add_f16_e32 v22, v24, v22
	v_add_f16_e32 v61, v66, v61
	v_fma_f16 v24, v68, 0xb461, -v168
	v_fma_f16 v66, v65, 0x3b76, -v198
	v_mov_b32_e32 v198, v134
	v_add_f16_e32 v21, v21, v22
	v_fma_f16 v22, v68, 0xb8d2, -v112
	v_add_f16_e32 v24, v24, v61
	v_add_f16_e32 v61, v98, v63
	v_fma_f16 v63, v23, 0x3722, -v170
	v_mov_b32_e32 v168, v30
	v_add_f16_e32 v21, v22, v21
	v_fma_f16 v22, v23, 0xbacd, -v79
	v_add_f16_e32 v61, v100, v61
	v_add_f16_e32 v24, v63, v24
	v_fma_f16 v63, v65, 0xbacd, -v155
	scratch_load_b32 v155, off, off offset:168 ; 4-byte Folded Reload
	v_add_f16_e32 v21, v22, v21
	v_fma_f16 v22, v65, 0xbbdd, -v97
	v_add_f16_e32 v24, v66, v24
	v_add_f16_e32 v23, v63, v75
	v_pack_b32_f16 v65, v87, v161
	v_add_f16_e32 v61, v109, v61
	v_add_f16_e32 v21, v22, v21
	v_dual_mov_b32 v170, v49 :: v_dual_mov_b32 v161, v85
	v_pack_b32_f16 v22, v90, v80
	v_pack_b32_f16 v24, v24, v62
	;; [unrolled: 1-line block ×4, first 2 shown]
	s_wait_loadcnt 0x1
	v_lshlrev_b32_e32 v63, 2, v19
	s_clause 0x2
	scratch_load_b32 v19, off, off offset:232 th:TH_LOAD_LU
	scratch_load_b32 v20, off, off offset:236 th:TH_LOAD_LU
	scratch_load_b32 v134, off, off offset:128
	s_wait_loadcnt 0x1
	v_pack_b32_f16 v66, v20, v19
	s_clause 0x5
	scratch_load_b32 v143, off, off offset:144
	scratch_load_b32 v190, off, off offset:164
	;; [unrolled: 1-line block ×4, first 2 shown]
	scratch_load_b32 v19, off, off offset:212 th:TH_LOAD_LU
	scratch_load_b32 v20, off, off offset:216 th:TH_LOAD_LU
	s_wait_loadcnt 0x0
	v_pack_b32_f16 v68, v20, v19
	s_clause 0x1
	scratch_load_b32 v19, off, off offset:220 th:TH_LOAD_LU
	scratch_load_b32 v20, off, off offset:228 th:TH_LOAD_LU
	s_wait_loadcnt 0x0
	v_pack_b32_f16 v69, v20, v19
	s_clause 0x1
	scratch_load_b32 v19, off, off offset:196 th:TH_LOAD_LU
	scratch_load_b32 v20, off, off offset:200 th:TH_LOAD_LU
	s_wait_loadcnt 0x0
	v_pack_b32_f16 v70, v20, v19
	s_clause 0x1
	scratch_load_b32 v19, off, off offset:204 th:TH_LOAD_LU
	scratch_load_b32 v20, off, off offset:208 th:TH_LOAD_LU
	s_wait_loadcnt 0x0
	v_pack_b32_f16 v71, v20, v19
	ds_store_2addr_b32 v63, v18, v65 offset1:1
	ds_store_2addr_b32 v63, v67, v66 offset0:2 offset1:3
	ds_store_2addr_b32 v63, v69, v68 offset0:4 offset1:5
	;; [unrolled: 1-line block ×3, first 2 shown]
	s_clause 0x1
	scratch_load_b32 v18, off, off offset:172 th:TH_LOAD_LU
	scratch_load_b32 v19, off, off offset:184 th:TH_LOAD_LU
	v_pack_b32_f16 v65, v92, v103
	s_wait_loadcnt 0x0
	v_pack_b32_f16 v18, v19, v18
	s_clause 0x1
	scratch_load_b32 v19, off, off offset:188 th:TH_LOAD_LU
	scratch_load_b32 v20, off, off offset:192 th:TH_LOAD_LU
	s_wait_loadcnt 0x0
	v_pack_b32_f16 v19, v20, v19
	v_pack_b32_f16 v20, v91, v99
	ds_store_2addr_b32 v63, v19, v18 offset0:8 offset1:9
	ds_store_2addr_b32 v63, v22, v20 offset0:10 offset1:11
	;; [unrolled: 1-line block ×4, first 2 shown]
	ds_store_b32 v63, v21 offset:64
.LBB0_13:
	s_wait_alu 0xfffe
	s_or_b32 exec_lo, exec_lo, s0
	v_add_nc_u32_e32 v63, 0x400, v88
	v_add_nc_u32_e32 v64, 0x600, v88
	;; [unrolled: 1-line block ×6, first 2 shown]
	global_wb scope:SCOPE_SE
	s_wait_storecnt_dscnt 0x0
	s_barrier_signal -1
	s_barrier_wait -1
	global_inv scope:SCOPE_SE
	ds_load_2addr_b32 v[19:20], v88 offset1:51
	ds_load_2addr_b32 v[21:22], v63 offset0:152 offset1:203
	ds_load_2addr_b32 v[65:66], v61 offset0:150 offset1:201
	ds_load_2addr_b32 v[67:68], v64 offset0:126 offset1:177
	ds_load_2addr_b32 v[69:70], v88 offset0:102 offset1:153
	ds_load_2addr_b32 v[71:72], v24 offset0:124 offset1:175
	ds_load_2addr_b32 v[73:74], v62 offset0:100 offset1:151
	ds_load_2addr_b32 v[75:76], v88 offset0:204 offset1:255
	ds_load_2addr_b32 v[77:78], v23 offset0:98 offset1:149
	ds_load_2addr_b32 v[79:80], v62 offset0:202 offset1:253
	ds_load_2addr_b32 v[81:82], v63 offset0:50 offset1:101
	ds_load_2addr_b32 v[83:84], v23 offset0:200 offset1:251
	scratch_load_b32 v49, off, off offset:120 th:TH_LOAD_LU ; 4-byte Folded Reload
	ds_load_2addr_b32 v[85:86], v61 offset0:48 offset1:99
	ds_load_b32 v96, v88 offset:5304
	s_mov_b32 s8, 0xdee863a6
	s_mov_b32 s9, 0x3f47cbf1
	s_wait_dscnt 0x7
	v_lshrrev_b32_e32 v98, 16, v73
	v_lshrrev_b32_e32 v89, 16, v22
	;; [unrolled: 1-line block ×4, first 2 shown]
	v_mul_f16_e64 v116, v143, v22
	v_lshrrev_b32_e32 v92, 16, v66
	v_mul_f16_e64 v113, v143, v89
	v_mul_f16_e64 v121, v142, v90
	v_lshrrev_b32_e32 v94, 16, v68
	v_fma_f16 v31, v25, v89, -v116
	v_mul_f16_e64 v89, v141, v91
	v_fmac_f16_e32 v113, v25, v22
	v_mul_f16_e64 v22, v142, v65
	v_fmac_f16_e32 v121, v26, v65
	v_mul_f16_e64 v65, v141, v67
	v_lshrrev_b32_e32 v95, 16, v71
	v_mul_f16_e64 v32, v140, v92
	v_fmac_f16_e64 v89, v178, v67
	v_mul_f16_e64 v67, v140, v66
	v_fma_f16 v25, v178, v91, -v65
	v_mul_f16_e64 v65, v147, v94
	v_lshrrev_b32_e32 v99, 16, v72
	v_fma_f16 v22, v26, v90, -v22
	v_fmac_f16_e64 v32, v179, v66
	v_mul_f16_e64 v66, v147, v68
	v_fma_f16 v26, v179, v92, -v67
	v_mul_f16_e64 v67, v146, v95
	v_fmac_f16_e32 v65, v27, v68
	v_mul_f16_e64 v68, v146, v71
	v_lshrrev_b32_e32 v101, 16, v74
	v_fma_f16 v29, v27, v94, -v66
	v_mul_f16_e64 v66, v148, v98
	v_fmac_f16_e32 v67, v28, v71
	v_mul_f16_e64 v71, v148, v73
	v_fma_f16 v30, v28, v95, -v68
	v_mul_f16_e64 v68, v145, v99
	s_wait_dscnt 0x5
	v_lshrrev_b32_e32 v102, 16, v77
	s_wait_dscnt 0x4
	v_lshrrev_b32_e32 v104, 16, v79
	v_fmac_f16_e64 v66, v180, v73
	v_mul_f16_e64 v73, v145, v72
	v_fma_f16 v27, v180, v98, -v71
	v_mul_f16_e64 v71, v152, v101
	v_fmac_f16_e64 v68, v181, v72
	v_mul_f16_e64 v72, v152, v74
	v_lshrrev_b32_e32 v105, 16, v78
	v_fma_f16 v28, v181, v99, -v73
	v_mul_f16_e64 v73, v153, v102
	v_fmac_f16_e32 v71, v41, v74
	v_mul_f16_e64 v74, v153, v77
	v_fma_f16 v41, v41, v101, -v72
	v_mul_f16_e64 v72, v156, v104
	v_lshrrev_b32_e32 v107, 16, v80
	s_wait_dscnt 0x2
	v_lshrrev_b32_e32 v108, 16, v83
	v_fmac_f16_e32 v73, v42, v77
	v_mul_f16_e64 v77, v156, v79
	v_fma_f16 v42, v42, v102, -v74
	v_mul_f16_e64 v74, v155, v105
	v_fmac_f16_e32 v72, v39, v79
	v_mul_f16_e64 v79, v155, v78
	s_wait_dscnt 0x1
	v_lshrrev_b32_e32 v110, 16, v85
	v_fma_f16 v39, v39, v104, -v77
	v_mul_f16_e64 v77, v201, v107
	v_fmac_f16_e32 v74, v40, v78
	v_mul_f16_e64 v78, v201, v80
	v_fma_f16 v40, v40, v105, -v79
	v_mul_f16_e64 v79, v195, v108
	v_fmac_f16_e32 v77, v37, v80
	v_mul_f16_e64 v80, v195, v83
	v_fma_f16 v37, v37, v107, -v78
	v_lshrrev_b32_e32 v111, 16, v84
	v_fmac_f16_e32 v79, v38, v83
	v_lshrrev_b32_e32 v114, 16, v86
	s_wait_dscnt 0x0
	v_lshrrev_b32_e32 v118, 16, v96
	v_fma_f16 v38, v38, v108, -v80
	v_mul_f16_e64 v80, v157, v111
	v_lshrrev_b32_e32 v18, 16, v19
	v_add_f16_e32 v90, v19, v113
	v_lshrrev_b32_e32 v87, 16, v20
	v_add_f16_e32 v92, v20, v89
	v_fmac_f16_e32 v80, v36, v84
	v_lshrrev_b32_e32 v93, 16, v69
	v_lshrrev_b32_e32 v97, 16, v70
	;; [unrolled: 1-line block ×3, first 2 shown]
	v_add_f16_e32 v92, v92, v32
	v_lshrrev_b32_e32 v103, 16, v76
	v_lshrrev_b32_e32 v106, 16, v81
	;; [unrolled: 1-line block ×4, first 2 shown]
	v_add_f16_e32 v90, v90, v121
	s_wait_loadcnt 0x0
	v_mul_f16_e32 v78, v49, v110
	v_mul_f16_e32 v83, v49, v85
	scratch_load_b32 v49, off, off offset:124 th:TH_LOAD_LU ; 4-byte Folded Reload
	global_wb scope:SCOPE_SE
	s_wait_loadcnt 0x0
	s_barrier_signal -1
	v_fmac_f16_e32 v78, v35, v85
	v_mul_f16_e64 v85, v157, v84
	v_fma_f16 v35, v35, v110, -v83
	s_barrier_wait -1
	global_inv scope:SCOPE_SE
	v_fma_f16 v36, v36, v111, -v85
	v_mul_f16_e64 v85, v204, v118
	s_delay_alu instid0(VALU_DEP_1) | instskip(SKIP_2) | instid1(VALU_DEP_2)
	v_fmac_f16_e32 v85, v34, v96
	v_mul_f16_e32 v83, v49, v114
	v_mul_f16_e32 v84, v49, v86
	v_fmac_f16_e32 v83, v33, v86
	v_mul_f16_e64 v86, v204, v96
	s_delay_alu instid0(VALU_DEP_3) | instskip(SKIP_1) | instid1(VALU_DEP_3)
	v_fma_f16 v33, v33, v114, -v84
	v_add_f16_e32 v84, v113, v121
	v_fma_f16 v34, v34, v118, -v86
	v_add_f16_e32 v86, v31, v22
	s_delay_alu instid0(VALU_DEP_3) | instskip(SKIP_2) | instid1(VALU_DEP_4)
	v_fma_f16 v19, -0.5, v84, v19
	v_sub_f16_e32 v84, v31, v22
	v_add_f16_e32 v31, v18, v31
	v_fmac_f16_e32 v18, -0.5, v86
	v_sub_f16_e32 v86, v113, v121
	s_delay_alu instid0(VALU_DEP_4)
	v_fmamk_f16 v91, v84, 0xbaee, v19
	v_fmac_f16_e32 v19, 0x3aee, v84
	v_add_f16_e32 v22, v31, v22
	v_add_f16_e32 v31, v89, v32
	v_fmamk_f16 v84, v86, 0x3aee, v18
	v_fmac_f16_e32 v18, 0xbaee, v86
	v_add_f16_e32 v86, v25, v26
	v_sub_f16_e32 v32, v89, v32
	v_fmac_f16_e32 v20, -0.5, v31
	v_sub_f16_e32 v31, v25, v26
	v_add_f16_e32 v25, v87, v25
	v_fmac_f16_e32 v87, -0.5, v86
	v_add_f16_e32 v89, v69, v65
	v_pack_b32_f16 v22, v90, v22
	v_fmamk_f16 v86, v31, 0xbaee, v20
	v_fmac_f16_e32 v20, 0x3aee, v31
	v_add_f16_e32 v25, v25, v26
	v_add_f16_e32 v26, v65, v67
	v_fmamk_f16 v31, v32, 0x3aee, v87
	v_fmac_f16_e32 v87, 0xbaee, v32
	v_add_f16_e32 v32, v29, v30
	v_add_f16_e32 v89, v89, v67
	v_fma_f16 v26, -0.5, v26, v69
	v_sub_f16_e32 v69, v29, v30
	v_add_f16_e32 v29, v93, v29
	v_fmac_f16_e32 v93, -0.5, v32
	v_sub_f16_e32 v32, v65, v67
	v_pack_b32_f16 v18, v19, v18
	v_fmamk_f16 v65, v69, 0xbaee, v26
	v_add_f16_e32 v29, v29, v30
	v_add_f16_e32 v30, v66, v68
	v_fmamk_f16 v67, v32, 0x3aee, v93
	v_fmac_f16_e32 v93, 0xbaee, v32
	v_add_f16_e32 v32, v27, v28
	v_fmac_f16_e32 v26, 0x3aee, v69
	v_add_f16_e32 v69, v70, v66
	v_fmac_f16_e32 v70, -0.5, v30
	v_sub_f16_e32 v30, v27, v28
	v_add_f16_e32 v27, v97, v27
	v_fmac_f16_e32 v97, -0.5, v32
	v_sub_f16_e32 v32, v66, v68
	v_add_f16_e32 v69, v69, v68
	v_fmamk_f16 v66, v30, 0xbaee, v70
	v_fmac_f16_e32 v70, 0x3aee, v30
	v_add_f16_e32 v27, v27, v28
	v_add_f16_e32 v28, v71, v73
	v_fmamk_f16 v30, v32, 0x3aee, v97
	v_fmac_f16_e32 v97, 0xbaee, v32
	v_add_f16_e32 v32, v41, v42
	v_add_f16_e32 v68, v75, v71
	v_fma_f16 v28, -0.5, v28, v75
	v_sub_f16_e32 v75, v41, v42
	v_add_f16_e32 v41, v100, v41
	v_fmac_f16_e32 v100, -0.5, v32
	v_sub_f16_e32 v32, v71, v73
	v_add_f16_e32 v68, v68, v73
	v_fmamk_f16 v71, v75, 0xbaee, v28
	v_add_f16_e32 v41, v41, v42
	v_add_f16_e32 v42, v72, v74
	v_fmamk_f16 v73, v32, 0x3aee, v100
	v_fmac_f16_e32 v100, 0xbaee, v32
	v_add_f16_e32 v32, v39, v40
	v_fmac_f16_e32 v28, 0x3aee, v75
	v_add_f16_e32 v75, v76, v72
	v_fmac_f16_e32 v76, -0.5, v42
	v_sub_f16_e32 v42, v39, v40
	v_add_f16_e32 v39, v103, v39
	v_fmac_f16_e32 v103, -0.5, v32
	v_sub_f16_e32 v32, v72, v74
	v_add_f16_e32 v75, v75, v74
	v_fmamk_f16 v72, v42, 0xbaee, v76
	v_fmac_f16_e32 v76, 0x3aee, v42
	v_add_f16_e32 v39, v39, v40
	v_add_f16_e32 v40, v77, v79
	v_fmamk_f16 v42, v32, 0x3aee, v103
	v_fmac_f16_e32 v103, 0xbaee, v32
	v_add_f16_e32 v32, v37, v38
	v_add_f16_e32 v74, v81, v77
	v_fma_f16 v40, -0.5, v40, v81
	v_sub_f16_e32 v81, v37, v38
	v_add_f16_e32 v37, v106, v37
	v_fmac_f16_e32 v106, -0.5, v32
	v_sub_f16_e32 v32, v77, v79
	v_add_f16_e32 v74, v74, v79
	v_fmamk_f16 v77, v81, 0xbaee, v40
	v_add_f16_e32 v37, v37, v38
	v_add_f16_e32 v38, v78, v80
	v_fmamk_f16 v79, v32, 0x3aee, v106
	v_fmac_f16_e32 v106, 0xbaee, v32
	v_add_f16_e32 v32, v35, v36
	v_fmac_f16_e32 v40, 0x3aee, v81
	v_add_f16_e32 v81, v82, v78
	v_fmac_f16_e32 v82, -0.5, v38
	v_sub_f16_e32 v38, v35, v36
	v_add_f16_e32 v35, v109, v35
	v_fmac_f16_e32 v109, -0.5, v32
	v_sub_f16_e32 v32, v78, v80
	v_add_f16_e32 v81, v81, v80
	v_fmamk_f16 v78, v38, 0xbaee, v82
	v_fmac_f16_e32 v82, 0x3aee, v38
	v_add_f16_e32 v35, v35, v36
	v_add_f16_e32 v36, v83, v85
	v_fmamk_f16 v38, v32, 0x3aee, v109
	v_fmac_f16_e32 v109, 0xbaee, v32
	v_add_f16_e32 v32, v33, v34
	v_add_f16_e32 v80, v21, v83
	v_fmac_f16_e32 v21, -0.5, v36
	v_sub_f16_e32 v36, v33, v34
	v_add_f16_e32 v33, v112, v33
	v_fmac_f16_e32 v112, -0.5, v32
	v_sub_f16_e32 v32, v83, v85
	v_pack_b32_f16 v19, v92, v25
	v_pack_b32_f16 v25, v86, v31
	v_add_f16_e32 v33, v33, v34
	v_add_f16_e32 v80, v80, v85
	v_fmamk_f16 v34, v32, 0x3aee, v112
	v_fmac_f16_e32 v112, 0xbaee, v32
	v_pack_b32_f16 v32, v91, v84
	ds_store_2addr_b32 v134, v22, v32 offset1:17
	ds_store_b32 v134, v18 offset:136
	ds_store_2addr_b32 v128, v19, v25 offset1:17
	v_pack_b32_f16 v18, v20, v87
	v_pack_b32_f16 v19, v89, v29
	;; [unrolled: 1-line block ×7, first 2 shown]
	ds_store_b32 v128, v18 offset:136
	ds_store_2addr_b32 v136, v19, v20 offset1:17
	ds_store_b32 v136, v22 offset:136
	ds_store_2addr_b32 v137, v25, v26 offset1:17
	ds_store_b32 v137, v27 offset:136
	v_pack_b32_f16 v18, v68, v41
	v_pack_b32_f16 v19, v71, v73
	;; [unrolled: 1-line block ×5, first 2 shown]
	v_fmamk_f16 v83, v36, 0xbaee, v21
	v_pack_b32_f16 v26, v76, v103
	v_fmac_f16_e32 v21, 0x3aee, v36
	v_pack_b32_f16 v27, v74, v37
	v_pack_b32_f16 v28, v77, v79
	ds_store_2addr_b32 v130, v18, v19 offset1:17
	ds_store_b32 v130, v20 offset:136
	ds_store_2addr_b32 v139, v22, v25 offset1:17
	ds_store_b32 v139, v26 offset:136
	ds_store_2addr_b32 v144, v27, v28 offset1:17
	v_pack_b32_f16 v18, v40, v106
	v_pack_b32_f16 v19, v81, v35
	v_pack_b32_f16 v20, v78, v38
	v_pack_b32_f16 v22, v82, v109
	v_pack_b32_f16 v25, v80, v33
	v_pack_b32_f16 v26, v83, v34
	v_pack_b32_f16 v21, v21, v112
	ds_store_b32 v144, v18 offset:136
	ds_store_2addr_b32 v149, v19, v20 offset1:17
	ds_store_b32 v149, v22 offset:136
	ds_store_2addr_b32 v151, v25, v26 offset1:17
	ds_store_b32 v151, v21 offset:136
	global_wb scope:SCOPE_SE
	s_wait_dscnt 0x0
	s_barrier_signal -1
	s_barrier_wait -1
	global_inv scope:SCOPE_SE
	ds_load_2addr_b32 v[21:22], v88 offset1:51
	ds_load_2addr_b32 v[19:20], v88 offset0:102 offset1:153
	ds_load_2addr_b32 v[27:28], v63 offset0:50 offset1:101
	;; [unrolled: 1-line block ×12, first 2 shown]
	ds_load_b32 v79, v88 offset:5304
	global_wb scope:SCOPE_SE
	s_wait_dscnt 0x0
	s_barrier_signal -1
	s_barrier_wait -1
	global_inv scope:SCOPE_SE
	v_lshrrev_b32_e32 v18, 16, v21
	v_lshrrev_b32_e32 v71, 16, v20
	;; [unrolled: 1-line block ×5, first 2 shown]
	v_mul_f16_e64 v96, v154, v20
	v_mul_f16_e64 v95, v154, v71
	;; [unrolled: 1-line block ×3, first 2 shown]
	v_lshrrev_b32_e32 v75, 16, v34
	v_lshrrev_b32_e32 v76, 16, v35
	;; [unrolled: 1-line block ×3, first 2 shown]
	v_fmac_f16_e32 v95, v0, v20
	v_fma_f16 v20, v0, v71, -v96
	v_fmac_f16_e32 v97, v1, v27
	v_mul_f16_e64 v27, v162, v27
	v_mul_f16_e64 v71, v164, v73
	;; [unrolled: 1-line block ×5, first 2 shown]
	v_lshrrev_b32_e32 v78, 16, v39
	v_lshrrev_b32_e32 v80, 16, v41
	v_fma_f16 v27, v1, v72, -v27
	v_fmac_f16_e32 v71, v2, v30
	v_fma_f16 v30, v2, v73, -v96
	v_fmac_f16_e32 v100, v3, v31
	v_fma_f16 v31, v3, v74, -v101
	v_mul_f16_e64 v72, v166, v75
	v_mul_f16_e64 v73, v166, v34
	;; [unrolled: 1-line block ×5, first 2 shown]
	v_lshrrev_b32_e32 v81, 16, v28
	v_lshrrev_b32_e32 v82, 16, v65
	;; [unrolled: 1-line block ×3, first 2 shown]
	v_fmac_f16_e32 v72, v4, v34
	v_fma_f16 v34, v4, v75, -v73
	v_fmac_f16_e32 v74, v5, v35
	v_fma_f16 v35, v5, v76, -v96
	v_fmac_f16_e32 v101, v6, v38
	v_mul_f16_e64 v38, v158, v38
	v_mul_f16_e64 v73, v150, v78
	;; [unrolled: 1-line block ×5, first 2 shown]
	v_lshrrev_b32_e32 v84, 16, v67
	v_lshrrev_b32_e32 v85, 16, v36
	v_fma_f16 v38, v6, v77, -v38
	v_fmac_f16_e32 v73, v7, v39
	v_fma_f16 v39, v7, v78, -v75
	v_fmac_f16_e32 v76, v0, v41
	v_fma_f16 v41, v0, v80, -v96
	v_mul_f16_e64 v75, v162, v81
	v_mul_f16_e64 v0, v162, v28
	;; [unrolled: 1-line block ×5, first 2 shown]
	v_lshrrev_b32_e32 v86, 16, v69
	v_lshrrev_b32_e32 v87, 16, v40
	;; [unrolled: 1-line block ×3, first 2 shown]
	v_fmac_f16_e32 v75, v1, v28
	v_fma_f16 v28, v1, v81, -v0
	v_fmac_f16_e32 v77, v2, v65
	v_fma_f16 v65, v2, v82, -v78
	v_fmac_f16_e32 v80, v3, v32
	v_mul_f16_e64 v0, v161, v32
	v_mul_f16_e64 v32, v166, v84
	;; [unrolled: 1-line block ×4, first 2 shown]
	v_lshrrev_b32_e32 v90, 16, v29
	v_lshrrev_b32_e32 v91, 16, v66
	v_mul_f16_e64 v2, v198, v36
	v_fma_f16 v81, v3, v83, -v0
	v_fmac_f16_e32 v32, v4, v67
	v_fma_f16 v67, v4, v84, -v1
	v_fmac_f16_e32 v78, v5, v36
	v_mul_f16_e64 v36, v158, v86
	v_mul_f16_e64 v0, v158, v69
	;; [unrolled: 1-line block ×4, first 2 shown]
	v_mul_f16_e32 v83, v127, v89
	v_lshrrev_b32_e32 v92, 16, v33
	v_lshrrev_b32_e32 v93, 16, v68
	;; [unrolled: 1-line block ×3, first 2 shown]
	v_fma_f16 v5, v5, v85, -v2
	v_fmac_f16_e32 v36, v6, v69
	v_fma_f16 v6, v6, v86, -v0
	v_fmac_f16_e32 v82, v7, v40
	v_fma_f16 v7, v7, v87, -v1
	v_fmac_f16_e32 v83, v12, v42
	v_mul_f16_e32 v0, v127, v42
	v_mul_f16_e64 v40, v192, v90
	v_mul_f16_e64 v1, v192, v29
	;; [unrolled: 1-line block ×4, first 2 shown]
	v_lshrrev_b32_e32 v98, 16, v70
	v_lshrrev_b32_e32 v99, 16, v79
	v_fma_f16 v12, v12, v89, -v0
	v_fmac_f16_e32 v40, v13, v29
	v_fma_f16 v13, v13, v90, -v1
	v_fmac_f16_e32 v42, v14, v66
	v_fma_f16 v14, v14, v91, -v2
	v_mul_f16_e64 v0, v171, v92
	v_mul_f16_e64 v2, v171, v33
	v_mul_f16_e64 v1, v175, v93
	v_mul_f16_e64 v4, v175, v68
	v_mul_f16_e64 v29, v167, v94
	v_fmac_f16_e32 v0, v15, v33
	v_fma_f16 v3, v15, v92, -v2
	v_fmac_f16_e32 v1, v8, v68
	v_fma_f16 v2, v8, v93, -v4
	v_fmac_f16_e32 v29, v9, v37
	v_mul_f16_e64 v4, v167, v37
	v_mul_f16_e64 v8, v170, v98
	;; [unrolled: 1-line block ×5, first 2 shown]
	v_add_f16_e32 v66, v95, v73
	v_fmac_f16_e32 v8, v10, v70
	v_fma_f16 v10, v10, v98, -v15
	v_fmac_f16_e32 v33, v11, v79
	v_fma_f16 v11, v11, v99, -v37
	v_sub_f16_e32 v15, v95, v73
	v_sub_f16_e32 v37, v20, v39
	;; [unrolled: 1-line block ×3, first 2 shown]
	v_add_f16_e32 v20, v20, v39
	v_sub_f16_e32 v73, v30, v35
	v_add_f16_e32 v27, v27, v38
	v_add_f16_e32 v30, v30, v35
	;; [unrolled: 1-line block ×3, first 2 shown]
	v_fma_f16 v9, v9, v94, -v4
	v_sub_f16_e32 v68, v97, v101
	v_mul_f16_e32 v70, 0x3924, v15
	v_mul_f16_e32 v4, 0x3924, v37
	v_sub_f16_e32 v84, v100, v72
	v_add_f16_e32 v87, v31, v34
	v_fmamk_f16 v89, v35, 0x3a21, v21
	v_add_f16_e32 v93, v27, v20
	v_sub_f16_e32 v39, v71, v74
	v_fmac_f16_e32 v70, 0x3be1, v68
	v_fmac_f16_e32 v4, 0x3be1, v69
	v_add_f16_e32 v38, v71, v74
	v_mul_f16_e32 v90, 0xb924, v84
	v_fmamk_f16 v91, v87, 0x3a21, v18
	v_fmac_f16_e32 v89, 0x318f, v66
	v_add_f16_e32 v95, v30, v93
	v_add_f16_e32 v79, v97, v101
	v_fmac_f16_e32 v70, 0x3aee, v39
	v_fmac_f16_e32 v4, 0x3aee, v73
	v_fmamk_f16 v71, v66, 0x3a21, v21
	v_sub_f16_e32 v85, v31, v34
	v_fmac_f16_e32 v90, 0x3be1, v15
	v_fmac_f16_e32 v91, 0x318f, v20
	v_fmac_f16_e32 v89, -0.5, v38
	v_add_f16_e32 v31, v31, v95
	v_fmamk_f16 v74, v20, 0x3a21, v18
	v_fmac_f16_e32 v71, 0x318f, v79
	v_fmac_f16_e32 v70, 0x3579, v84
	;; [unrolled: 1-line block ×3, first 2 shown]
	v_mul_f16_e32 v86, 0xb924, v85
	v_fmac_f16_e32 v90, 0xbaee, v39
	v_fmac_f16_e32 v91, -0.5, v30
	v_fmac_f16_e32 v89, 0xbb84, v79
	v_add_f16_e32 v92, v84, v15
	v_add_f16_e32 v94, v85, v37
	;; [unrolled: 1-line block ×4, first 2 shown]
	v_mul_f16_e32 v84, 0x3be1, v84
	v_mul_f16_e32 v85, 0x3be1, v85
	v_fmamk_f16 v79, v79, 0x3a21, v21
	v_fmac_f16_e32 v74, 0x318f, v27
	v_fmac_f16_e32 v90, 0x3579, v68
	v_fmac_f16_e32 v91, 0xbb84, v27
	v_sub_f16_e32 v92, v92, v68
	v_add_f16_e32 v101, v30, v18
	v_add_f16_e32 v34, v87, v93
	;; [unrolled: 1-line block ×3, first 2 shown]
	v_fmac_f16_e32 v18, 0x3a21, v27
	v_fma_f16 v27, v68, 0xb924, -v84
	v_fma_f16 v68, v69, 0xb924, -v85
	v_fmac_f16_e32 v79, 0x318f, v35
	v_fmac_f16_e32 v101, -0.5, v34
	v_fmac_f16_e32 v18, 0x318f, v87
	v_fmac_f16_e32 v27, 0x3aee, v39
	;; [unrolled: 1-line block ×3, first 2 shown]
	v_add_f16_e32 v34, v38, v96
	v_fmac_f16_e32 v79, -0.5, v38
	v_fmac_f16_e32 v71, -0.5, v38
	v_fmac_f16_e32 v86, 0x3be1, v37
	v_fmac_f16_e32 v18, -0.5, v30
	v_fmac_f16_e32 v27, 0x3579, v15
	v_fmac_f16_e32 v68, 0x3579, v37
	v_add_f16_e32 v15, v100, v34
	v_fmac_f16_e32 v79, 0xbb84, v66
	v_fmac_f16_e32 v74, -0.5, v30
	v_fmac_f16_e32 v71, 0xbb84, v35
	v_fmac_f16_e32 v86, 0xbaee, v73
	v_add_f16_e32 v95, v38, v21
	v_add_f16_e32 v98, v35, v96
	v_fmac_f16_e32 v18, 0xbb84, v20
	v_add_f16_e32 v15, v72, v15
	v_sub_f16_e32 v20, v79, v68
	v_add_f16_e32 v35, v76, v82
	v_add_f16_e32 v37, v41, v7
	;; [unrolled: 1-line block ×4, first 2 shown]
	v_fmac_f16_e32 v74, 0xbb84, v87
	v_fmac_f16_e32 v86, 0x3579, v69
	v_sub_f16_e32 v94, v94, v69
	v_mul_f16_e32 v97, 0x3aee, v92
	v_fmac_f16_e32 v101, 0x3aee, v92
	v_add_f16_e32 v15, v15, v21
	v_fma_f16 v21, 2.0, v68, v20
	v_sub_f16_e32 v39, v76, v82
	v_add_f16_e32 v68, v77, v78
	v_sub_f16_e32 v7, v41, v7
	v_add_f16_e32 v69, v65, v5
	v_add_f16_e32 v87, v38, v35
	;; [unrolled: 1-line block ×3, first 2 shown]
	v_fma_f16 v34, -2.0, v97, v101
	v_sub_f16_e32 v36, v75, v36
	v_mul_f16_e32 v41, 0x3924, v39
	v_sub_f16_e32 v6, v28, v6
	v_mul_f16_e32 v28, 0x3924, v7
	v_sub_f16_e32 v75, v80, v32
	v_sub_f16_e32 v76, v81, v67
	v_add_f16_e32 v96, v68, v87
	v_add_f16_e32 v97, v69, v92
	v_lshrrev_b32_e32 v26, 16, v22
	v_sub_f16_e32 v72, v77, v78
	v_fmac_f16_e32 v41, 0x3be1, v36
	v_sub_f16_e32 v5, v65, v5
	v_fmac_f16_e32 v28, 0x3be1, v6
	v_add_f16_e32 v77, v80, v32
	v_add_f16_e32 v78, v81, v67
	v_mul_f16_e32 v79, 0xb924, v76
	v_mul_f16_e32 v84, 0xb924, v75
	v_add_f16_e32 v80, v80, v96
	v_add_f16_e32 v81, v81, v97
	v_fmac_f16_e32 v95, -0.5, v98
	v_fmac_f16_e32 v41, 0x3aee, v72
	v_fmac_f16_e32 v28, 0x3aee, v5
	v_fmamk_f16 v82, v77, 0x3a21, v22
	v_fmac_f16_e32 v79, 0x3be1, v7
	v_fmamk_f16 v85, v78, 0x3a21, v26
	v_fmac_f16_e32 v84, 0x3be1, v39
	v_add_f16_e32 v32, v32, v80
	v_add_f16_e32 v67, v67, v81
	v_mul_f16_e32 v99, 0x3aee, v94
	v_fmac_f16_e32 v95, 0xbaee, v94
	v_fmamk_f16 v65, v35, 0x3a21, v22
	v_fmamk_f16 v73, v37, 0x3a21, v26
	v_fmac_f16_e32 v41, 0x3579, v75
	v_fmac_f16_e32 v28, 0x3579, v76
	;; [unrolled: 1-line block ×6, first 2 shown]
	v_add_f16_e32 v93, v75, v39
	v_add_f16_e32 v94, v76, v7
	;; [unrolled: 1-line block ×4, first 2 shown]
	v_mul_f16_e32 v75, 0x3be1, v75
	v_mul_f16_e32 v76, 0x3be1, v76
	v_add_f16_e32 v32, v32, v22
	v_add_f16_e32 v67, v67, v26
	v_fmac_f16_e32 v22, 0x3a21, v38
	v_fmac_f16_e32 v26, 0x3a21, v66
	v_fmac_f16_e32 v82, -0.5, v68
	v_fmac_f16_e32 v79, 0x3579, v6
	v_fmac_f16_e32 v85, -0.5, v69
	v_fmac_f16_e32 v84, 0x3579, v36
	v_sub_f16_e32 v93, v93, v36
	v_sub_f16_e32 v94, v94, v6
	v_fma_f16 v36, v36, 0xb924, -v75
	v_fma_f16 v6, v6, 0xb924, -v76
	v_fmac_f16_e32 v22, 0x318f, v77
	v_fmac_f16_e32 v26, 0x318f, v78
	;; [unrolled: 1-line block ×5, first 2 shown]
	v_add_f16_e32 v38, v78, v92
	v_fmac_f16_e32 v36, 0x3aee, v72
	v_fmac_f16_e32 v6, 0x3aee, v5
	v_fmac_f16_e32 v22, -0.5, v68
	v_fmac_f16_e32 v26, -0.5, v69
	v_fmac_f16_e32 v73, 0x318f, v66
	v_add_f16_e32 v85, v84, v85
	v_add_f16_e32 v80, v77, v87
	v_fmac_f16_e32 v98, -0.5, v38
	v_fmac_f16_e32 v36, 0x3579, v39
	v_fmac_f16_e32 v6, 0x3579, v7
	;; [unrolled: 1-line block ×4, first 2 shown]
	v_add_f16_e32 v37, v83, v33
	v_add_f16_e32 v38, v12, v11
	;; [unrolled: 1-line block ×4, first 2 shown]
	v_fmac_f16_e32 v65, -0.5, v68
	v_fmac_f16_e32 v97, -0.5, v80
	v_sub_f16_e32 v7, v22, v6
	v_add_f16_e32 v22, v36, v26
	v_fma_f16 v26, -2.0, v84, v85
	v_sub_f16_e32 v33, v83, v33
	v_add_f16_e32 v68, v42, v29
	v_sub_f16_e32 v8, v40, v8
	v_add_f16_e32 v40, v14, v9
	v_add_f16_e32 v83, v39, v37
	;; [unrolled: 1-line block ×3, first 2 shown]
	v_mul_f16_e32 v96, 0x3aee, v93
	v_mul_f16_e32 v5, 0x3aee, v94
	v_fmac_f16_e32 v97, 0xbaee, v94
	v_fmac_f16_e32 v98, 0x3aee, v93
	v_add_f16_e32 v93, v68, v83
	v_add_f16_e32 v94, v40, v84
	v_fmac_f16_e32 v73, -0.5, v69
	v_sub_f16_e32 v11, v12, v11
	v_mul_f16_e32 v12, 0x3924, v33
	v_sub_f16_e32 v69, v0, v1
	v_sub_f16_e32 v72, v3, v2
	v_add_f16_e32 v75, v0, v1
	v_add_f16_e32 v76, v3, v2
	v_add_f16_e32 v0, v0, v93
	v_add_f16_e32 v3, v3, v94
	v_sub_f16_e32 v29, v42, v29
	v_fmac_f16_e32 v12, 0x3be1, v8
	v_mul_f16_e32 v80, 0xb924, v69
	v_lshrrev_b32_e32 v25, 16, v19
	v_add_f16_e32 v0, v1, v0
	v_add_f16_e32 v1, v2, v3
	v_fmac_f16_e32 v12, 0x3aee, v29
	v_fmac_f16_e32 v80, 0x3be1, v33
	;; [unrolled: 1-line block ×3, first 2 shown]
	v_fmamk_f16 v78, v75, 0x3a21, v19
	v_fma_f16 v35, -2.0, v96, v98
	v_fmamk_f16 v42, v38, 0x3a21, v25
	v_fmamk_f16 v81, v76, 0x3a21, v25
	v_add_f16_e32 v96, v40, v25
	v_mul_f16_e32 v3, 0x3be1, v69
	v_add_f16_e32 v1, v1, v25
	v_fmac_f16_e32 v25, 0x3a21, v66
	v_sub_f16_e32 v10, v13, v10
	v_sub_f16_e32 v9, v14, v9
	v_fmamk_f16 v14, v37, 0x3a21, v19
	v_fmac_f16_e32 v12, 0x3579, v69
	v_fmac_f16_e32 v80, 0xbaee, v29
	v_add_f16_e32 v87, v69, v33
	v_add_f16_e32 v94, v68, v19
	v_mul_f16_e32 v69, 0x3be1, v72
	v_add_f16_e32 v0, v0, v19
	v_fmac_f16_e32 v19, 0x3a21, v39
	v_fmac_f16_e32 v65, 0xbb84, v77
	v_mul_f16_e32 v77, 0xb924, v72
	v_fmac_f16_e32 v78, 0x318f, v37
	v_mul_f16_e32 v13, 0x3924, v11
	v_fma_f16 v3, v8, 0xb924, -v3
	v_fmac_f16_e32 v25, 0x318f, v76
	v_fmac_f16_e32 v80, 0x3579, v8
	v_sub_f16_e32 v87, v87, v8
	v_fma_f16 v8, v10, 0xb924, -v69
	v_fmac_f16_e32 v19, 0x318f, v75
	v_fmac_f16_e32 v77, 0x3be1, v11
	;; [unrolled: 1-line block ×3, first 2 shown]
	v_fmac_f16_e32 v78, -0.5, v68
	v_fmac_f16_e32 v13, 0x3be1, v10
	v_fmac_f16_e32 v14, 0x318f, v39
	;; [unrolled: 1-line block ×4, first 2 shown]
	v_fmac_f16_e32 v25, -0.5, v40
	v_add_f16_e32 v18, v27, v18
	v_fmac_f16_e32 v8, 0x3aee, v9
	v_fmac_f16_e32 v19, -0.5, v68
	v_sub_f16_e32 v89, v89, v86
	v_add_f16_e32 v91, v90, v91
	v_fmac_f16_e32 v77, 0xbaee, v9
	v_fmac_f16_e32 v81, -0.5, v40
	v_fmac_f16_e32 v78, 0xbb84, v39
	v_add_f16_e32 v92, v72, v11
	v_add_f16_e32 v2, v75, v83
	;; [unrolled: 1-line block ×3, first 2 shown]
	v_fmac_f16_e32 v13, 0x3aee, v9
	v_fmac_f16_e32 v14, -0.5, v68
	v_fmac_f16_e32 v42, -0.5, v40
	v_sub_f16_e32 v71, v71, v4
	v_add_f16_e32 v74, v70, v74
	v_fmac_f16_e32 v3, 0x3579, v33
	v_fmac_f16_e32 v25, 0xbb84, v38
	v_fma_f16 v27, -2.0, v27, v18
	v_fmac_f16_e32 v8, 0x3579, v11
	v_fmac_f16_e32 v19, 0xbb84, v37
	v_fma_f16 v86, 2.0, v86, v89
	v_fma_f16 v90, -2.0, v90, v91
	v_fma_f16 v30, 2.0, v99, v95
	v_fmac_f16_e32 v77, 0x3579, v10
	v_fmac_f16_e32 v81, 0xbb84, v66
	v_sub_f16_e32 v92, v92, v10
	v_fmac_f16_e32 v94, -0.5, v2
	v_fmac_f16_e32 v96, -0.5, v39
	v_sub_f16_e32 v65, v65, v28
	v_add_f16_e32 v73, v41, v73
	v_sub_f16_e32 v82, v82, v79
	v_fmac_f16_e32 v13, 0x3579, v72
	v_fmac_f16_e32 v14, 0xbb84, v75
	;; [unrolled: 1-line block ×3, first 2 shown]
	v_fma_f16 v4, 2.0, v4, v71
	v_fma_f16 v70, -2.0, v70, v74
	v_add_f16_e32 v10, v3, v25
	v_pack_b32_f16 v15, v15, v31
	v_pack_b32_f16 v25, v71, v74
	;; [unrolled: 1-line block ×4, first 2 shown]
	v_sub_f16_e32 v9, v19, v8
	v_pack_b32_f16 v18, v20, v18
	v_pack_b32_f16 v20, v21, v27
	v_fma_f16 v5, 2.0, v5, v97
	v_fma_f16 v6, 2.0, v6, v7
	v_fma_f16 v36, -2.0, v36, v22
	v_sub_f16_e32 v78, v78, v77
	v_add_f16_e32 v81, v80, v81
	v_mul_f16_e32 v93, 0x3aee, v87
	v_mul_f16_e32 v2, 0x3aee, v92
	v_fmac_f16_e32 v94, 0xbaee, v92
	v_fmac_f16_e32 v96, 0x3aee, v87
	v_pack_b32_f16 v21, v30, v34
	v_pack_b32_f16 v27, v86, v90
	v_fma_f16 v28, 2.0, v28, v65
	v_fma_f16 v41, -2.0, v41, v73
	v_fma_f16 v79, 2.0, v79, v82
	v_sub_f16_e32 v14, v14, v13
	v_add_f16_e32 v42, v12, v42
	ds_store_2addr_b32 v88, v15, v25 offset1:51
	ds_store_2addr_b32 v88, v29, v31 offset0:102 offset1:153
	ds_store_2addr_b32 v88, v18, v20 offset0:204 offset1:255
	;; [unrolled: 1-line block ×3, first 2 shown]
	v_pack_b32_f16 v4, v4, v70
	v_pack_b32_f16 v15, v32, v67
	;; [unrolled: 1-line block ×4, first 2 shown]
	v_fma_f16 v8, 2.0, v8, v9
	v_fma_f16 v3, -2.0, v3, v10
	v_pack_b32_f16 v21, v97, v98
	v_pack_b32_f16 v7, v7, v22
	v_fma_f16 v77, 2.0, v77, v78
	v_fma_f16 v11, -2.0, v80, v81
	v_fma_f16 v2, 2.0, v2, v94
	v_fma_f16 v19, -2.0, v93, v96
	v_pack_b32_f16 v6, v6, v36
	v_pack_b32_f16 v5, v5, v35
	v_fma_f16 v13, 2.0, v13, v14
	v_fma_f16 v12, -2.0, v12, v42
	v_pack_b32_f16 v22, v79, v26
	v_pack_b32_f16 v25, v28, v41
	ds_store_2addr_b32 v63, v4, v15 offset0:152 offset1:203
	ds_store_2addr_b32 v64, v18, v20 offset0:126 offset1:177
	;; [unrolled: 1-line block ×5, first 2 shown]
	v_pack_b32_f16 v0, v0, v1
	v_pack_b32_f16 v1, v14, v42
	v_add_nc_u32_e32 v4, 0xc00, v168
	v_pack_b32_f16 v5, v78, v81
	v_pack_b32_f16 v6, v94, v96
	v_add_nc_u32_e32 v7, 0xe00, v168
	;; [unrolled: 3-line block ×3, first 2 shown]
	v_pack_b32_f16 v2, v2, v19
	v_pack_b32_f16 v10, v77, v11
	;; [unrolled: 1-line block ×3, first 2 shown]
	ds_store_2addr_b32 v4, v0, v1 offset0:150 offset1:201
	ds_store_2addr_b32 v7, v5, v6 offset0:124 offset1:175
	;; [unrolled: 1-line block ×4, first 2 shown]
	ds_store_b32 v168, v11 offset:5304
	global_wb scope:SCOPE_SE
	s_wait_dscnt 0x0
	s_barrier_signal -1
	s_barrier_wait -1
	global_inv scope:SCOPE_SE
	ds_load_2addr_b32 v[0:1], v88 offset1:51
	ds_load_2addr_b32 v[2:3], v63 offset0:152 offset1:203
	ds_load_2addr_b32 v[4:5], v61 offset0:150 offset1:201
	;; [unrolled: 1-line block ×11, first 2 shown]
	ds_load_b32 v39, v88 offset:5304
	ds_load_2addr_b32 v[25:26], v63 offset0:50 offset1:101
	s_wait_dscnt 0xd
	v_lshrrev_b32_e32 v18, 16, v0
	s_wait_dscnt 0xc
	v_lshrrev_b32_e32 v31, 16, v3
	;; [unrolled: 2-line block ×4, first 2 shown]
	v_lshrrev_b32_e32 v35, 16, v5
	v_mul_f16_e64 v80, v172, v3
	v_mul_f16_e64 v78, v172, v31
	;; [unrolled: 1-line block ×3, first 2 shown]
	v_lshrrev_b32_e32 v37, 16, v7
	v_mul_f16_e32 v49, v126, v34
	s_wait_dscnt 0x8
	v_lshrrev_b32_e32 v38, 16, v10
	v_fmac_f16_e64 v78, v182, v3
	v_mul_f16_e64 v3, v189, v4
	v_fmac_f16_e64 v82, v183, v4
	v_mul_f16_e32 v4, v126, v6
	s_wait_dscnt 0x7
	v_lshrrev_b32_e32 v41, 16, v12
	v_fmac_f16_e32 v49, v47, v6
	v_fma_f16 v3, v183, v32, -v3
	v_mul_f16_e64 v32, v190, v35
	v_mul_f16_e64 v6, v190, v5
	v_fma_f16 v4, v47, v34, -v4
	v_mul_f16_e64 v34, v187, v37
	v_lshrrev_b32_e32 v42, 16, v11
	v_fmac_f16_e32 v32, v48, v5
	v_mul_f16_e64 v5, v187, v7
	v_fma_f16 v6, v48, v35, -v6
	v_mul_f16_e64 v35, v186, v38
	v_fmac_f16_e32 v34, v45, v7
	v_mul_f16_e64 v7, v186, v10
	v_fma_f16 v5, v45, v37, -v5
	v_mul_f16_e64 v37, v188, v41
	v_lshrrev_b32_e32 v66, 16, v13
	s_wait_dscnt 0x5
	v_lshrrev_b32_e32 v67, 16, v19
	s_wait_dscnt 0x4
	v_lshrrev_b32_e32 v69, 16, v21
	v_lshrrev_b32_e32 v70, 16, v20
	;; [unrolled: 1-line block ×3, first 2 shown]
	s_wait_dscnt 0x3
	v_lshrrev_b32_e32 v73, 16, v27
	s_wait_dscnt 0x2
	v_lshrrev_b32_e32 v75, 16, v29
	v_fmac_f16_e32 v35, v46, v10
	v_mul_f16_e64 v10, v188, v12
	v_fma_f16 v7, v46, v38, -v7
	v_mul_f16_e64 v38, v185, v42
	v_fmac_f16_e32 v37, v43, v12
	v_mul_f16_e64 v12, v185, v11
	v_lshrrev_b32_e32 v76, 16, v28
	v_fma_f16 v10, v43, v41, -v10
	v_mul_f16_e64 v41, v163, v66
	v_fmac_f16_e32 v38, v44, v11
	v_fma_f16 v12, v44, v42, -v12
	v_mul_f16_e64 v42, v176, v67
	v_mul_f16_e64 v43, v173, v69
	;; [unrolled: 1-line block ×6, first 2 shown]
	v_lshrrev_b32_e32 v79, 16, v30
	s_wait_dscnt 0x1
	v_lshrrev_b32_e32 v81, 16, v39
	v_fma_f16 v31, v182, v31, -v80
	v_mul_f16_e64 v11, v163, v13
	v_fmac_f16_e32 v41, v57, v13
	v_mul_f16_e64 v13, v176, v19
	v_fmac_f16_e32 v42, v58, v19
	;; [unrolled: 2-line block ×6, first 2 shown]
	v_mul_f16_e64 v27, v191, v29
	v_mul_f16_e64 v48, v177, v76
	v_fmac_f16_e32 v47, v51, v29
	v_mul_f16_e64 v29, v177, v28
	v_fma_f16 v20, v53, v72, -v20
	v_fma_f16 v27, v51, v75, -v27
	v_mul_f16_e64 v50, v169, v79
	v_fmac_f16_e32 v48, v52, v28
	v_fma_f16 v29, v52, v76, -v29
	v_mul_f16_e64 v51, v174, v81
	v_add_f16_e32 v52, v78, v82
	v_add_f16_e32 v53, v31, v3
	v_mul_f16_e64 v28, v169, v30
	v_fmac_f16_e32 v50, v59, v30
	v_mul_f16_e64 v30, v174, v39
	v_fmac_f16_e32 v51, v60, v39
	v_add_f16_e32 v39, v0, v78
	v_fma_f16 v0, -0.5, v52, v0
	v_sub_f16_e32 v52, v31, v3
	v_add_f16_e32 v31, v18, v31
	v_fmac_f16_e32 v18, -0.5, v53
	v_sub_f16_e32 v53, v78, v82
	v_lshrrev_b32_e32 v33, 16, v1
	v_fma_f16 v19, v55, v69, -v19
	v_fma_f16 v22, v54, v73, -v22
	v_fmamk_f16 v54, v52, 0xbaee, v0
	v_fmac_f16_e32 v0, 0x3aee, v52
	v_add_f16_e32 v3, v31, v3
	v_add_f16_e32 v31, v49, v32
	v_fmamk_f16 v52, v53, 0x3aee, v18
	v_add_f16_e32 v55, v1, v49
	v_fmac_f16_e32 v18, 0xbaee, v53
	v_add_f16_e32 v53, v4, v6
	v_fmac_f16_e32 v1, -0.5, v31
	v_sub_f16_e32 v31, v4, v6
	v_add_f16_e32 v55, v55, v32
	v_add_f16_e32 v4, v33, v4
	v_fmac_f16_e32 v33, -0.5, v53
	v_sub_f16_e32 v32, v49, v32
	v_lshrrev_b32_e32 v36, 16, v8
	v_fmamk_f16 v49, v31, 0xbaee, v1
	v_fmac_f16_e32 v1, 0x3aee, v31
	v_add_f16_e32 v4, v4, v6
	v_add_f16_e32 v6, v34, v35
	v_fmamk_f16 v31, v32, 0x3aee, v33
	v_fmac_f16_e32 v33, 0xbaee, v32
	v_add_f16_e32 v32, v5, v7
	v_add_f16_e32 v53, v8, v34
	v_fma_f16 v6, -0.5, v6, v8
	v_sub_f16_e32 v8, v5, v7
	v_add_f16_e32 v5, v36, v5
	v_fmac_f16_e32 v36, -0.5, v32
	v_sub_f16_e32 v32, v34, v35
	v_lshrrev_b32_e32 v40, 16, v9
	v_fmamk_f16 v34, v8, 0xbaee, v6
	v_fmac_f16_e32 v6, 0x3aee, v8
	v_add_f16_e32 v5, v5, v7
	v_add_f16_e32 v7, v37, v38
	v_fmamk_f16 v8, v32, 0x3aee, v36
	v_fmac_f16_e32 v36, 0xbaee, v32
	v_add_f16_e32 v32, v10, v12
	v_fma_f16 v11, v57, v66, -v11
	v_fma_f16 v13, v58, v67, -v13
	v_add_f16_e32 v53, v53, v35
	v_add_f16_e32 v35, v9, v37
	v_fmac_f16_e32 v9, -0.5, v7
	v_sub_f16_e32 v7, v10, v12
	v_add_f16_e32 v10, v40, v10
	v_fmac_f16_e32 v40, -0.5, v32
	v_sub_f16_e32 v32, v37, v38
	v_lshrrev_b32_e32 v65, 16, v14
	v_fmamk_f16 v37, v7, 0xbaee, v9
	v_fmac_f16_e32 v9, 0x3aee, v7
	v_add_f16_e32 v7, v10, v12
	v_add_f16_e32 v10, v41, v42
	v_fmamk_f16 v12, v32, 0x3aee, v40
	v_fmac_f16_e32 v40, 0xbaee, v32
	v_add_f16_e32 v32, v11, v13
	v_fma_f16 v21, v56, v70, -v21
	v_add_f16_e32 v35, v35, v38
	v_add_f16_e32 v38, v14, v41
	v_fma_f16 v10, -0.5, v10, v14
	v_sub_f16_e32 v14, v11, v13
	v_add_f16_e32 v11, v65, v11
	v_fmac_f16_e32 v65, -0.5, v32
	v_sub_f16_e32 v32, v41, v42
	v_lshrrev_b32_e32 v68, 16, v15
	v_fmamk_f16 v41, v14, 0xbaee, v10
	v_fmac_f16_e32 v10, 0x3aee, v14
	v_add_f16_e32 v11, v11, v13
	v_add_f16_e32 v13, v43, v44
	v_fmamk_f16 v14, v32, 0x3aee, v65
	v_fmac_f16_e32 v65, 0xbaee, v32
	v_add_f16_e32 v32, v19, v21
	v_add_f16_e32 v38, v38, v42
	;; [unrolled: 1-line block ×3, first 2 shown]
	v_fmac_f16_e32 v15, -0.5, v13
	v_sub_f16_e32 v13, v19, v21
	v_add_f16_e32 v19, v68, v19
	v_fmac_f16_e32 v68, -0.5, v32
	v_sub_f16_e32 v32, v43, v44
	s_wait_dscnt 0x0
	v_lshrrev_b32_e32 v71, 16, v25
	v_fmamk_f16 v43, v13, 0xbaee, v15
	v_fmac_f16_e32 v15, 0x3aee, v13
	v_add_f16_e32 v13, v19, v21
	v_add_f16_e32 v19, v45, v46
	v_fmamk_f16 v21, v32, 0x3aee, v68
	v_fmac_f16_e32 v68, 0xbaee, v32
	v_add_f16_e32 v32, v20, v22
	v_add_f16_e32 v42, v42, v44
	;; [unrolled: 1-line block ×3, first 2 shown]
	v_fma_f16 v19, -0.5, v19, v25
	v_sub_f16_e32 v25, v20, v22
	v_add_f16_e32 v20, v71, v20
	v_fmac_f16_e32 v71, -0.5, v32
	v_sub_f16_e32 v32, v45, v46
	v_add_f16_e32 v39, v39, v82
	v_lshrrev_b32_e32 v74, 16, v26
	v_add_f16_e32 v44, v44, v46
	v_fmamk_f16 v45, v25, 0xbaee, v19
	v_fmac_f16_e32 v19, 0x3aee, v25
	v_add_f16_e32 v20, v20, v22
	v_add_f16_e32 v22, v47, v48
	v_fmamk_f16 v25, v32, 0x3aee, v71
	v_add_f16_e32 v46, v26, v47
	v_fmac_f16_e32 v71, 0xbaee, v32
	v_add_f16_e32 v32, v27, v29
	v_fma_f16 v28, v59, v79, -v28
	v_fma_f16 v30, v60, v81, -v30
	v_pack_b32_f16 v3, v39, v3
	v_pack_b32_f16 v4, v55, v4
	v_lshrrev_b32_e32 v77, 16, v2
	v_fmac_f16_e32 v26, -0.5, v22
	v_sub_f16_e32 v22, v27, v29
	v_add_f16_e32 v46, v46, v48
	v_add_f16_e32 v27, v74, v27
	v_fmac_f16_e32 v74, -0.5, v32
	v_sub_f16_e32 v32, v47, v48
	v_add_f16_e32 v48, v50, v51
	v_add_f16_e32 v56, v28, v30
	v_pack_b32_f16 v0, v0, v18
	v_pack_b32_f16 v1, v1, v33
	ds_store_2addr_b32 v88, v3, v4 offset1:51
	v_pack_b32_f16 v3, v49, v31
	v_pack_b32_f16 v4, v53, v5
	;; [unrolled: 1-line block ×3, first 2 shown]
	v_fmamk_f16 v47, v22, 0xbaee, v26
	v_fmac_f16_e32 v26, 0x3aee, v22
	v_add_f16_e32 v22, v27, v29
	v_add_f16_e32 v29, v2, v50
	v_fmac_f16_e32 v2, -0.5, v48
	v_sub_f16_e32 v48, v28, v30
	v_add_f16_e32 v28, v77, v28
	v_pack_b32_f16 v7, v35, v7
	v_pack_b32_f16 v6, v6, v36
	;; [unrolled: 1-line block ×3, first 2 shown]
	v_fmac_f16_e32 v77, -0.5, v56
	v_sub_f16_e32 v50, v50, v51
	ds_store_2addr_b32 v61, v0, v1 offset0:150 offset1:201
	ds_store_2addr_b32 v64, v3, v5 offset0:126 offset1:177
	;; [unrolled: 1-line block ×3, first 2 shown]
	v_pack_b32_f16 v0, v37, v12
	v_pack_b32_f16 v3, v41, v14
	v_fmamk_f16 v27, v32, 0x3aee, v74
	v_fmac_f16_e32 v74, 0xbaee, v32
	v_pack_b32_f16 v1, v38, v11
	v_pack_b32_f16 v5, v42, v13
	v_add_f16_e32 v29, v29, v51
	v_add_f16_e32 v28, v28, v30
	ds_store_2addr_b32 v24, v6, v8 offset0:124 offset1:175
	v_pack_b32_f16 v4, v10, v65
	v_pack_b32_f16 v6, v15, v68
	v_fmamk_f16 v32, v48, 0xbaee, v2
	v_fmamk_f16 v30, v50, 0x3aee, v77
	v_pack_b32_f16 v7, v43, v21
	v_pack_b32_f16 v8, v45, v25
	v_fmac_f16_e32 v2, 0x3aee, v48
	v_fmac_f16_e32 v77, 0xbaee, v50
	ds_store_2addr_b32 v62, v0, v3 offset0:100 offset1:151
	ds_store_2addr_b32 v88, v1, v5 offset0:204 offset1:255
	;; [unrolled: 1-line block ×3, first 2 shown]
	v_pack_b32_f16 v0, v44, v20
	v_pack_b32_f16 v3, v46, v22
	;; [unrolled: 1-line block ×6, first 2 shown]
	ds_store_2addr_b32 v62, v7, v8 offset0:202 offset1:253
	v_pack_b32_f16 v4, v47, v27
	v_pack_b32_f16 v7, v32, v30
	;; [unrolled: 1-line block ×3, first 2 shown]
	ds_store_2addr_b32 v63, v0, v3 offset0:50 offset1:101
	ds_store_2addr_b32 v23, v1, v5 offset0:200 offset1:251
	;; [unrolled: 1-line block ×4, first 2 shown]
	ds_store_b32 v88, v2 offset:5304
	global_wb scope:SCOPE_SE
	s_wait_dscnt 0x0
	s_barrier_signal -1
	s_barrier_wait -1
	global_inv scope:SCOPE_SE
	ds_load_2addr_b32 v[0:1], v88 offset1:81
	v_lshrrev_b32_e32 v5, 16, v120
	v_lshrrev_b32_e32 v14, 16, v119
	s_clause 0x1
	scratch_load_b32 v29, off, off offset:116 th:TH_LOAD_LU
	scratch_load_b32 v28, off, off offset:100 th:TH_LOAD_LU
	v_lshrrev_b32_e32 v26, 16, v117
	scratch_load_b32 v30, off, off offset:96 th:TH_LOAD_LU ; 4-byte Folded Reload
	s_wait_dscnt 0x0
	v_lshrrev_b32_e32 v4, 16, v0
	s_delay_alu instid0(VALU_DEP_1) | instskip(NEXT) | instid1(VALU_DEP_1)
	v_mul_f16_e32 v2, v5, v4
	v_fmac_f16_e32 v2, v120, v0
	v_mul_f16_e32 v0, v5, v0
	s_delay_alu instid0(VALU_DEP_2) | instskip(NEXT) | instid1(VALU_DEP_2)
	v_cvt_f32_f16_e32 v2, v2
	v_fma_f16 v0, v120, v4, -v0
	s_delay_alu instid0(VALU_DEP_2) | instskip(NEXT) | instid1(VALU_DEP_2)
	v_cvt_f64_f32_e32 v[2:3], v2
	v_cvt_f32_f16_e32 v0, v0
	s_delay_alu instid0(VALU_DEP_1) | instskip(SKIP_1) | instid1(VALU_DEP_1)
	v_cvt_f64_f32_e32 v[4:5], v0
	v_lshrrev_b32_e32 v0, 16, v1
	v_mul_f16_e32 v6, v14, v0
	s_delay_alu instid0(VALU_DEP_1) | instskip(SKIP_1) | instid1(VALU_DEP_2)
	v_fmac_f16_e32 v6, v119, v1
	v_mul_f16_e32 v1, v14, v1
	v_cvt_f32_f16_e32 v6, v6
	s_delay_alu instid0(VALU_DEP_2) | instskip(NEXT) | instid1(VALU_DEP_1)
	v_fma_f16 v0, v119, v0, -v1
	v_cvt_f32_f16_e32 v0, v0
	s_wait_alu 0xfffe
	v_mul_f64_e32 v[2:3], s[8:9], v[2:3]
	v_mul_f64_e32 v[4:5], s[8:9], v[4:5]
	s_delay_alu instid0(VALU_DEP_2) | instskip(SKIP_2) | instid1(VALU_DEP_3)
	v_and_or_b32 v2, 0x1ff, v3, v2
	v_lshrrev_b32_e32 v7, 8, v3
	v_bfe_u32 v8, v3, 20, 11
	v_cmp_ne_u32_e64 s0, 0, v2
	v_and_or_b32 v4, 0x1ff, v5, v4
	s_delay_alu instid0(VALU_DEP_3)
	v_sub_nc_u32_e32 v9, 0x3f1, v8
	v_lshrrev_b32_e32 v12, 8, v5
	v_bfe_u32 v13, v5, 20, 11
	s_wait_alu 0xf1ff
	v_cndmask_b32_e64 v2, 0, 1, s0
	v_cmp_ne_u32_e64 s0, 0, v4
	v_med3_i32 v9, v9, 0, 13
	v_add_nc_u32_e32 v14, 0xfffffc10, v8
	v_sub_nc_u32_e32 v8, 0x3f1, v13
	v_and_or_b32 v2, 0xffe, v7, v2
	s_wait_alu 0xf1ff
	v_cndmask_b32_e64 v4, 0, 1, s0
	v_cvt_f64_f32_e32 v[6:7], v6
	v_add_nc_u32_e32 v19, 0xfffffc10, v13
	v_med3_i32 v8, v8, 0, 13
	v_or_b32_e32 v10, 0x1000, v2
	v_and_or_b32 v4, 0xffe, v12, v4
	v_lshrrev_b32_e32 v5, 16, v5
	s_delay_alu instid0(VALU_DEP_3) | instskip(NEXT) | instid1(VALU_DEP_1)
	v_lshrrev_b32_e32 v11, v9, v10
	v_lshlrev_b32_e32 v9, v9, v11
	s_delay_alu instid0(VALU_DEP_1) | instskip(SKIP_2) | instid1(VALU_DEP_2)
	v_cmp_ne_u32_e64 s0, v9, v10
	v_or_b32_e32 v10, 0x1000, v4
	s_wait_alu 0xf1ff
	v_cndmask_b32_e64 v9, 0, 1, s0
	s_delay_alu instid0(VALU_DEP_2) | instskip(SKIP_1) | instid1(VALU_DEP_3)
	v_lshrrev_b32_e32 v15, v8, v10
	v_cmp_gt_i32_e64 s0, 1, v14
	v_or_b32_e32 v1, v11, v9
	s_delay_alu instid0(VALU_DEP_3) | instskip(SKIP_1) | instid1(VALU_DEP_2)
	v_lshlrev_b32_e32 v11, v8, v15
	v_lshl_or_b32 v9, v14, 12, v2
	v_cmp_ne_u32_e64 s2, v11, v10
	scratch_load_b64 v[10:11], off, off offset:108 th:TH_LOAD_LU ; 8-byte Folded Reload
	s_wait_alu 0xf1ff
	v_cndmask_b32_e64 v12, v9, v1, s0
	v_cvt_f64_f32_e32 v[0:1], v0
	v_mul_f64_e32 v[6:7], s[8:9], v[6:7]
	v_cndmask_b32_e64 v18, 0, 1, s2
	s_delay_alu instid0(VALU_DEP_4) | instskip(SKIP_1) | instid1(VALU_DEP_3)
	v_and_b32_e32 v9, 7, v12
	v_lshrrev_b32_e32 v12, 2, v12
	v_or_b32_e32 v13, v15, v18
	v_lshl_or_b32 v15, v19, 12, v4
	s_delay_alu instid0(VALU_DEP_4)
	v_cmp_lt_i32_e64 s0, 5, v9
	v_cmp_eq_u32_e64 s1, 3, v9
	ds_load_2addr_b32 v[8:9], v88 offset0:162 offset1:243
	s_or_b32 s0, s1, s0
	s_wait_alu 0xfffe
	v_add_co_ci_u32_e64 v12, s0, 0, v12, s0
	v_cmp_ne_u32_e64 s0, 0, v2
	s_wait_alu 0xf1ff
	s_delay_alu instid0(VALU_DEP_1) | instskip(SKIP_1) | instid1(VALU_DEP_2)
	v_cndmask_b32_e64 v18, 0, 1, s0
	v_cmp_gt_i32_e64 s0, 1, v19
	v_lshl_or_b32 v18, v18, 9, 0x7c00
	s_wait_alu 0xf1ff
	s_delay_alu instid0(VALU_DEP_2) | instskip(SKIP_3) | instid1(VALU_DEP_3)
	v_cndmask_b32_e64 v13, v15, v13, s0
	v_cmp_gt_i32_e64 s0, 31, v14
	s_wait_dscnt 0x0
	v_lshrrev_b32_e32 v21, 16, v8
	v_and_b32_e32 v20, 7, v13
	s_wait_alu 0xf1ff
	v_cndmask_b32_e64 v15, 0x7c00, v12, s0
	v_cmp_eq_u32_e64 s0, 0x40f, v14
	v_mul_f64_e32 v[0:1], s[8:9], v[0:1]
	v_and_or_b32 v6, 0x1ff, v7, v6
	v_cmp_eq_u32_e64 s1, 3, v20
	s_wait_alu 0xf1ff
	v_cndmask_b32_e64 v14, v15, v18, s0
	v_cmp_lt_i32_e64 s0, 5, v20
	v_lshrrev_b32_e32 v18, 8, v7
	v_bfe_u32 v20, v7, 20, 11
	v_lshrrev_b32_e32 v7, 16, v7
	s_delay_alu instid0(VALU_DEP_4) | instskip(SKIP_3) | instid1(VALU_DEP_1)
	s_or_b32 s0, s1, s0
	v_and_or_b32 v0, 0x1ff, v1, v0
	s_wait_loadcnt 0x0
	v_mov_b32_e32 v22, v10
	v_mad_co_u64_u32 v[10:11], null, s6, v22, 0
	s_delay_alu instid0(VALU_DEP_1) | instskip(NEXT) | instid1(VALU_DEP_1)
	v_mov_b32_e32 v2, v11
	v_mad_co_u64_u32 v[11:12], null, s7, v22, v[2:3]
	v_mul_f16_e32 v2, v26, v21
	v_lshrrev_b32_e32 v12, 2, v13
	v_lshrrev_b32_e32 v22, 16, v3
	s_mul_u64 s[6:7], s[4:5], 0x51
	s_delay_alu instid0(VALU_DEP_3)
	v_fmac_f16_e32 v2, v117, v8
	s_wait_alu 0xfffe
	v_add_co_ci_u32_e64 v15, s0, 0, v12, s0
	v_cmp_ne_u32_e64 s0, 0, v6
	v_and_or_b32 v14, 0x8000, v22, v14
	v_cvt_f32_f16_e32 v2, v2
	v_lshlrev_b64_e32 v[10:11], 2, v[10:11]
	s_lshl_b64 s[6:7], s[6:7], 2
	v_cndmask_b32_e64 v6, 0, 1, s0
	v_cmp_ne_u32_e64 s0, 0, v4
	v_cvt_f64_f32_e32 v[12:13], v2
	v_sub_nc_u32_e32 v4, 0x3f1, v20
	v_and_b32_e32 v14, 0xffff, v14
	v_and_or_b32 v6, 0xffe, v18, v6
	s_wait_alu 0xf1ff
	v_cndmask_b32_e64 v2, 0, 1, s0
	v_cmp_gt_i32_e64 s0, 31, v19
	v_med3_i32 v4, v4, 0, 13
	v_or_b32_e32 v18, 0x1000, v6
	s_delay_alu instid0(VALU_DEP_4)
	v_lshl_or_b32 v2, v2, 9, 0x7c00
	s_wait_alu 0xf1ff
	v_cndmask_b32_e64 v15, 0x7c00, v15, s0
	v_cmp_eq_u32_e64 s0, 0x40f, v19
	v_lshrrev_b32_e32 v19, v4, v18
	s_wait_alu 0xf1ff
	s_delay_alu instid0(VALU_DEP_2) | instskip(SKIP_1) | instid1(VALU_DEP_3)
	v_cndmask_b32_e64 v15, v15, v2, s0
	v_mad_co_u64_u32 v[2:3], null, s4, v115, 0
	v_lshlrev_b32_e32 v4, v4, v19
	s_delay_alu instid0(VALU_DEP_3) | instskip(SKIP_1) | instid1(VALU_DEP_3)
	v_and_or_b32 v15, 0x8000, v5, v15
	v_mul_f16_e32 v5, v26, v8
	v_cmp_ne_u32_e64 s0, v4, v18
	v_mad_co_u64_u32 v[3:4], null, s5, v115, v[3:4]
	s_delay_alu instid0(VALU_DEP_3)
	v_fma_f16 v5, v117, v21, -v5
	v_add_nc_u32_e32 v18, 0xfffffc10, v20
	s_wait_alu 0xf1ff
	v_cndmask_b32_e64 v8, 0, 1, s0
	v_cmp_ne_u32_e64 s0, 0, v0
	v_bfe_u32 v20, v1, 20, 11
	v_cvt_f32_f16_e32 v4, v5
	v_lshl_or_b32 v21, v18, 12, v6
	v_or_b32_e32 v8, v19, v8
	s_wait_alu 0xf1ff
	v_cndmask_b32_e64 v0, 0, 1, s0
	v_lshrrev_b32_e32 v19, 8, v1
	v_cvt_f64_f32_e32 v[4:5], v4
	v_mul_f64_e32 v[12:13], s[8:9], v[12:13]
	v_cmp_gt_i32_e64 s0, 1, v18
	v_lshl_or_b32 v14, v15, 16, v14
	v_and_or_b32 v0, 0xffe, v19, v0
	v_sub_nc_u32_e32 v19, 0x3f1, v20
	v_lshlrev_b64_e32 v[2:3], 2, v[2:3]
	s_wait_alu 0xf1ff
	v_cndmask_b32_e64 v8, v21, v8, s0
	v_add_co_u32 v25, s0, s10, v10
	v_or_b32_e32 v21, 0x1000, v0
	v_med3_i32 v19, v19, 0, 13
	s_delay_alu instid0(VALU_DEP_4)
	v_and_b32_e32 v15, 7, v8
	s_wait_alu 0xf1ff
	v_add_co_ci_u32_e64 v26, s0, s11, v11, s0
	v_lshrrev_b32_e32 v8, 2, v8
	v_lshrrev_b32_e32 v22, v19, v21
	v_cmp_lt_i32_e64 s0, 5, v15
	v_cmp_eq_u32_e64 s1, 3, v15
	v_add_nc_u32_e32 v15, 0xfffffc10, v20
	s_delay_alu instid0(VALU_DEP_4) | instskip(SKIP_1) | instid1(VALU_DEP_4)
	v_lshlrev_b32_e32 v10, v19, v22
	v_lshrrev_b32_e32 v19, 16, v9
	s_or_b32 s0, s1, s0
	s_delay_alu instid0(VALU_DEP_3)
	v_lshl_or_b32 v11, v15, 12, v0
	s_wait_alu 0xfffe
	v_add_co_ci_u32_e64 v8, s0, 0, v8, s0
	v_cmp_ne_u32_e64 s2, v10, v21
	v_cmp_ne_u32_e64 s0, 0, v6
	v_mul_f16_e32 v20, v29, v19
	s_wait_alu 0xf1ff
	s_delay_alu instid0(VALU_DEP_3) | instskip(NEXT) | instid1(VALU_DEP_3)
	v_cndmask_b32_e64 v10, 0, 1, s2
	v_cndmask_b32_e64 v6, 0, 1, s0
	v_cmp_gt_i32_e64 s0, 1, v15
	v_fmac_f16_e32 v20, v28, v9
	v_cmp_eq_u32_e64 s2, 0x40f, v18
	v_or_b32_e32 v10, v22, v10
	v_mul_f64_e32 v[4:5], s[8:9], v[4:5]
	v_lshl_or_b32 v6, v6, 9, 0x7c00
	v_lshrrev_b32_e32 v22, 8, v13
	v_bfe_u32 v27, v13, 20, 11
	s_wait_alu 0xf1ff
	v_cndmask_b32_e64 v21, v11, v10, s0
	v_and_or_b32 v10, 0x1ff, v13, v12
	v_cmp_gt_i32_e64 s0, 31, v18
	v_cvt_f32_f16_e32 v11, v20
	v_mul_f16_e32 v9, v29, v9
	v_and_b32_e32 v12, 7, v21
	scratch_load_b32 v29, off, off offset:84 th:TH_LOAD_LU ; 4-byte Folded Reload
	s_wait_alu 0xf1ff
	v_cndmask_b32_e64 v8, 0x7c00, v8, s0
	v_cmp_ne_u32_e64 s0, 0, v10
	v_cvt_f64_f32_e32 v[10:11], v11
	v_cmp_eq_u32_e64 s1, 3, v12
	v_lshrrev_b32_e32 v13, 16, v13
	v_cndmask_b32_e64 v6, v8, v6, s2
	s_wait_alu 0xf1ff
	v_cndmask_b32_e64 v20, 0, 1, s0
	v_cmp_lt_i32_e64 s0, 5, v12
	v_lshrrev_b32_e32 v8, 2, v21
	s_delay_alu instid0(VALU_DEP_3) | instskip(SKIP_1) | instid1(VALU_DEP_4)
	v_and_or_b32 v12, 0xffe, v22, v20
	v_sub_nc_u32_e32 v20, 0x3f1, v27
	s_or_b32 s0, s1, s0
	v_and_or_b32 v22, 0x8000, v7, v6
	s_wait_alu 0xfffe
	v_add_co_ci_u32_e64 v8, s0, 0, v8, s0
	v_or_b32_e32 v18, 0x1000, v12
	v_med3_i32 v20, v20, 0, 13
	v_cmp_ne_u32_e64 s0, 0, v0
	v_and_b32_e32 v22, 0xffff, v22
	s_delay_alu instid0(VALU_DEP_3) | instskip(SKIP_1) | instid1(VALU_DEP_3)
	v_lshrrev_b32_e32 v21, v20, v18
	s_wait_alu 0xf1ff
	v_cndmask_b32_e64 v0, 0, 1, s0
	v_cmp_gt_i32_e64 s0, 31, v15
	v_and_or_b32 v4, 0x1ff, v5, v4
	v_lshlrev_b32_e32 v6, v20, v21
	s_delay_alu instid0(VALU_DEP_4) | instskip(SKIP_4) | instid1(VALU_DEP_1)
	v_lshl_or_b32 v0, v0, 9, 0x7c00
	s_wait_alu 0xf1ff
	v_cndmask_b32_e64 v8, 0x7c00, v8, s0
	v_cmp_eq_u32_e64 s0, 0x40f, v15
	s_wait_alu 0xf1ff
	v_cndmask_b32_e64 v15, v8, v0, s0
	v_fma_f16 v0, v28, v19, -v9
	v_cmp_ne_u32_e64 s0, v6, v18
	v_add_nc_u32_e32 v18, 0xfffffc10, v27
	scratch_load_b32 v27, off, off offset:104 th:TH_LOAD_LU ; 4-byte Folded Reload
	v_lshrrev_b32_e32 v9, 8, v5
	v_cvt_f32_f16_e32 v0, v0
	s_wait_alu 0xf1ff
	v_cndmask_b32_e64 v8, 0, 1, s0
	v_cmp_ne_u32_e64 s0, 0, v4
	v_lshl_or_b32 v20, v18, 12, v12
	v_bfe_u32 v19, v5, 20, 11
	v_cvt_f64_f32_e32 v[6:7], v0
	v_or_b32_e32 v0, v21, v8
	s_wait_alu 0xf1ff
	v_cndmask_b32_e64 v4, 0, 1, s0
	v_cmp_gt_i32_e64 s0, 1, v18
	s_delay_alu instid0(VALU_DEP_2) | instskip(SKIP_1) | instid1(VALU_DEP_2)
	v_and_or_b32 v4, 0xffe, v9, v4
	s_wait_alu 0xf1ff
	v_cndmask_b32_e64 v20, v20, v0, s0
	v_add_co_u32 v2, s0, v25, v2
	s_wait_alu 0xf1ff
	v_add_co_ci_u32_e64 v3, s0, v26, v3, s0
	scratch_load_b32 v26, off, off offset:92 th:TH_LOAD_LU ; 4-byte Folded Reload
	v_mul_f64_e32 v[8:9], s[8:9], v[10:11]
	v_sub_nc_u32_e32 v10, 0x3f1, v19
	v_lshrrev_b32_e32 v11, 16, v1
	v_or_b32_e32 v21, 0x1000, v4
	ds_load_2addr_b32 v[0:1], v63 offset0:68 offset1:149
	v_and_b32_e32 v25, 7, v20
	v_med3_i32 v10, v10, 0, 13
	v_and_or_b32 v11, 0x8000, v11, v15
	global_store_b32 v[2:3], v14, off
	v_add_nc_u32_e32 v14, 0xfffffc10, v19
	v_cmp_lt_i32_e64 s0, 5, v25
	v_lshrrev_b32_e32 v15, v10, v21
	v_cmp_eq_u32_e64 s1, 3, v25
	v_lshl_or_b32 v22, v11, 16, v22
	v_lshrrev_b32_e32 v11, 2, v20
	v_lshl_or_b32 v19, v14, 12, v4
	v_lshlrev_b32_e32 v10, v10, v15
	s_or_b32 s0, s1, s0
	s_wait_alu 0xfffe
	v_add_co_ci_u32_e64 v11, s0, 0, v11, s0
	s_delay_alu instid0(VALU_DEP_2) | instskip(SKIP_3) | instid1(VALU_DEP_3)
	v_cmp_ne_u32_e64 s2, v10, v21
	v_cmp_ne_u32_e64 s0, 0, v12
	v_mul_f64_e32 v[6:7], s[8:9], v[6:7]
	s_wait_alu 0xf1ff
	v_cndmask_b32_e64 v10, 0, 1, s2
	s_delay_alu instid0(VALU_DEP_3) | instskip(SKIP_2) | instid1(VALU_DEP_4)
	v_cndmask_b32_e64 v12, 0, 1, s0
	v_cmp_gt_i32_e64 s0, 1, v14
	v_cmp_eq_u32_e64 s2, 0x40f, v18
	v_or_b32_e32 v10, v15, v10
	s_wait_dscnt 0x0
	v_lshrrev_b32_e32 v15, 16, v0
	v_lshl_or_b32 v12, v12, 9, 0x7c00
	s_wait_alu 0xf1ff
	v_cndmask_b32_e64 v19, v19, v10, s0
	v_cmp_gt_i32_e64 s0, 31, v18
	v_and_or_b32 v8, 0x1ff, v9, v8
	v_bfe_u32 v25, v9, 20, 11
	s_delay_alu instid0(VALU_DEP_4)
	v_and_b32_e32 v10, 7, v19
	s_wait_alu 0xf1ff
	v_cndmask_b32_e64 v21, 0x7c00, v11, s0
	v_cmp_ne_u32_e64 s0, 0, v8
	v_lshrrev_b32_e32 v18, 2, v19
	v_cmp_eq_u32_e64 s1, 3, v10
	s_delay_alu instid0(VALU_DEP_4) | instskip(SKIP_3) | instid1(VALU_DEP_3)
	v_cndmask_b32_e64 v12, v21, v12, s2
	s_wait_alu 0xf1ff
	v_cndmask_b32_e64 v8, 0, 1, s0
	v_cmp_lt_i32_e64 s0, 5, v10
	v_and_or_b32 v12, 0x8000, v13, v12
	s_delay_alu instid0(VALU_DEP_2)
	s_or_b32 s0, s1, s0
	s_wait_alu 0xfffe
	v_add_co_ci_u32_e64 v18, s0, 0, v18, s0
	v_cmp_ne_u32_e64 s0, 0, v4
	v_and_b32_e32 v12, 0xffff, v12
	s_wait_alu 0xf1ff
	s_delay_alu instid0(VALU_DEP_2) | instskip(SKIP_1) | instid1(VALU_DEP_2)
	v_cndmask_b32_e64 v4, 0, 1, s0
	v_cmp_gt_i32_e64 s0, 31, v14
	v_lshl_or_b32 v4, v4, 9, 0x7c00
	s_wait_alu 0xf1ff
	s_delay_alu instid0(VALU_DEP_2) | instskip(SKIP_2) | instid1(VALU_DEP_1)
	v_cndmask_b32_e64 v18, 0x7c00, v18, s0
	v_cmp_eq_u32_e64 s0, 0x40f, v14
	s_wait_alu 0xf1ff
	v_cndmask_b32_e64 v14, v18, v4, s0
	v_and_or_b32 v4, 0x1ff, v7, v6
	v_lshrrev_b32_e32 v6, 16, v5
	s_delay_alu instid0(VALU_DEP_1) | instskip(SKIP_3) | instid1(VALU_DEP_1)
	v_and_or_b32 v6, 0x8000, v6, v14
	s_wait_loadcnt 0x1
	v_mul_f16_e32 v20, v27, v15
	s_wait_loadcnt 0x0
	v_fmac_f16_e32 v20, v26, v0
	v_mul_f16_e32 v0, v27, v0
	s_delay_alu instid0(VALU_DEP_2) | instskip(SKIP_1) | instid1(VALU_DEP_3)
	v_cvt_f32_f16_e32 v11, v20
	v_lshrrev_b32_e32 v20, 8, v9
	v_fma_f16 v0, v26, v15, -v0
	v_bfe_u32 v15, v7, 20, 11
	v_lshrrev_b32_e32 v26, 16, v1
	v_cvt_f64_f32_e32 v[10:11], v11
	v_and_or_b32 v8, 0xffe, v20, v8
	v_sub_nc_u32_e32 v20, 0x3f1, v25
	v_cvt_f32_f16_e32 v0, v0
	s_delay_alu instid0(VALU_DEP_3) | instskip(NEXT) | instid1(VALU_DEP_3)
	v_or_b32_e32 v19, 0x1000, v8
	v_med3_i32 v20, v20, 0, 13
	s_delay_alu instid0(VALU_DEP_1) | instskip(NEXT) | instid1(VALU_DEP_1)
	v_lshrrev_b32_e32 v21, v20, v19
	v_lshlrev_b32_e32 v13, v20, v21
	s_delay_alu instid0(VALU_DEP_1) | instskip(SKIP_3) | instid1(VALU_DEP_3)
	v_cmp_ne_u32_e64 s0, v13, v19
	v_lshrrev_b32_e32 v13, 8, v7
	v_add_nc_u32_e32 v19, 0xfffffc10, v25
	s_wait_alu 0xf1ff
	v_cndmask_b32_e64 v5, 0, 1, s0
	v_cmp_ne_u32_e64 s0, 0, v4
	s_delay_alu instid0(VALU_DEP_2) | instskip(SKIP_1) | instid1(VALU_DEP_2)
	v_or_b32_e32 v18, v21, v5
	s_wait_alu 0xf1ff
	v_cndmask_b32_e64 v4, 0, 1, s0
	v_lshl_or_b32 v21, v19, 12, v8
	v_cmp_gt_i32_e64 s0, 1, v19
	s_delay_alu instid0(VALU_DEP_3)
	v_and_or_b32 v20, 0xffe, v13, v4
	v_mul_f64_e32 v[4:5], s[8:9], v[10:11]
	v_cvt_f64_f32_e32 v[10:11], v0
	v_sub_nc_u32_e32 v13, 0x3f1, v15
	s_wait_alu 0xf1ff
	v_cndmask_b32_e64 v14, v21, v18, s0
	v_or_b32_e32 v0, 0x1000, v20
	v_add_co_u32 v2, s0, v2, s6
	v_med3_i32 v13, v13, 0, 13
	s_wait_alu 0xf1ff
	v_add_co_ci_u32_e64 v3, s0, s7, v3, s0
	v_lshl_or_b32 v21, v6, 16, v12
	v_and_b32_e32 v6, 7, v14
	v_lshrrev_b32_e32 v18, v13, v0
	v_add_co_u32 v12, s0, v2, s6
	s_delay_alu instid0(VALU_DEP_3) | instskip(NEXT) | instid1(VALU_DEP_3)
	v_cmp_eq_u32_e64 s1, 3, v6
	v_lshlrev_b32_e32 v25, v13, v18
	s_wait_alu 0xf1ff
	v_add_co_ci_u32_e64 v13, s0, s7, v3, s0
	v_cmp_lt_i32_e64 s0, 5, v6
	v_lshrrev_b32_e32 v6, 2, v14
	v_cmp_ne_u32_e64 s2, v25, v0
	v_add_nc_u32_e32 v25, 0xfffffc10, v15
	v_mul_f16_e32 v15, v30, v26
	s_or_b32 s0, s1, s0
	s_wait_alu 0xfffe
	v_add_co_ci_u32_e64 v6, s0, 0, v6, s0
	v_cndmask_b32_e64 v0, 0, 1, s2
	v_cmp_ne_u32_e64 s0, 0, v8
	v_lshl_or_b32 v14, v25, 12, v20
	v_fmac_f16_e32 v15, v29, v1
	v_mul_f16_e32 v1, v30, v1
	v_or_b32_e32 v0, v18, v0
	s_wait_alu 0xf1ff
	v_cndmask_b32_e64 v8, 0, 1, s0
	v_cmp_gt_i32_e64 s0, 1, v25
	v_and_or_b32 v4, 0x1ff, v5, v4
	v_mul_f64_e32 v[10:11], s[8:9], v[10:11]
	s_delay_alu instid0(VALU_DEP_4)
	v_lshl_or_b32 v8, v8, 9, 0x7c00
	s_wait_alu 0xf1ff
	v_cndmask_b32_e64 v0, v14, v0, s0
	v_cmp_gt_i32_e64 s0, 31, v19
	v_cvt_f32_f16_e32 v14, v15
	v_lshrrev_b32_e32 v27, 8, v5
	v_bfe_u32 v28, v5, 20, 11
	v_and_b32_e32 v18, 7, v0
	s_wait_alu 0xf1ff
	v_cndmask_b32_e64 v6, 0x7c00, v6, s0
	v_cmp_ne_u32_e64 s0, 0, v4
	v_cvt_f64_f32_e32 v[14:15], v14
	v_lshrrev_b32_e32 v0, 2, v0
	v_cmp_eq_u32_e64 s1, 3, v18
	v_fma_f16 v1, v29, v26, -v1
	s_wait_alu 0xf1ff
	v_cndmask_b32_e64 v4, 0, 1, s0
	v_cmp_eq_u32_e64 s0, 0x40f, v19
	s_delay_alu instid0(VALU_DEP_3) | instskip(NEXT) | instid1(VALU_DEP_3)
	v_cvt_f32_f16_e32 v1, v1
	v_and_or_b32 v4, 0xffe, v27, v4
	s_wait_alu 0xf1ff
	s_delay_alu instid0(VALU_DEP_3) | instskip(SKIP_4) | instid1(VALU_DEP_4)
	v_cndmask_b32_e64 v6, v6, v8, s0
	v_cmp_lt_i32_e64 s0, 5, v18
	v_lshrrev_b32_e32 v8, 16, v9
	v_sub_nc_u32_e32 v9, 0x3f1, v28
	v_or_b32_e32 v18, 0x1000, v4
	s_or_b32 s0, s1, s0
	s_delay_alu instid0(VALU_DEP_3) | instskip(SKIP_4) | instid1(VALU_DEP_2)
	v_and_or_b32 v27, 0x8000, v8, v6
	s_wait_alu 0xfffe
	v_add_co_ci_u32_e64 v0, s0, 0, v0, s0
	v_med3_i32 v9, v9, 0, 13
	v_cmp_ne_u32_e64 s0, 0, v20
	v_lshrrev_b32_e32 v20, v9, v18
	s_wait_alu 0xf1ff
	s_delay_alu instid0(VALU_DEP_2)
	v_cndmask_b32_e64 v19, 0, 1, s0
	v_cmp_gt_i32_e64 s0, 31, v25
	v_and_or_b32 v8, 0x1ff, v11, v10
	v_lshrrev_b32_e32 v10, 16, v7
	v_lshlrev_b32_e32 v6, v9, v20
	v_lshl_or_b32 v19, v19, 9, 0x7c00
	s_wait_alu 0xf1ff
	v_cndmask_b32_e64 v26, 0x7c00, v0, s0
	v_cmp_eq_u32_e64 s0, 0x40f, v25
	v_add_nc_u32_e32 v25, 0xfffffc10, v28
	v_lshrrev_b32_e32 v28, 8, v11
	v_cvt_f64_f32_e32 v[0:1], v1
	v_bfe_u32 v29, v11, 20, 11
	s_wait_alu 0xf1ff
	v_cndmask_b32_e64 v19, v26, v19, s0
	v_cmp_ne_u32_e64 s0, v6, v18
	v_mul_f64_e32 v[6:7], s[8:9], v[14:15]
	v_lshl_or_b32 v15, v25, 12, v4
	v_lshrrev_b32_e32 v11, 16, v11
	v_and_or_b32 v10, 0x8000, v10, v19
	s_wait_alu 0xf1ff
	v_cndmask_b32_e64 v18, 0, 1, s0
	v_cmp_ne_u32_e64 s0, 0, v8
	ds_load_2addr_b32 v[8:9], v64 offset0:102 offset1:183
	s_clause 0x1
	global_store_b32 v[2:3], v22, off
	global_store_b32 v[12:13], v21, off
	v_sub_nc_u32_e32 v19, 0x3f1, v29
	v_or_b32_e32 v14, v20, v18
	s_wait_alu 0xf1ff
	v_cndmask_b32_e64 v26, 0, 1, s0
	v_and_b32_e32 v20, 0xffff, v27
	scratch_load_b32 v27, off, off offset:76 th:TH_LOAD_LU ; 4-byte Folded Reload
	v_cmp_gt_i32_e64 s0, 1, v25
	v_med3_i32 v19, v19, 0, 13
	v_and_or_b32 v18, 0xffe, v28, v26
	scratch_load_b32 v28, off, off offset:88 th:TH_LOAD_LU ; 4-byte Folded Reload
	v_lshl_or_b32 v10, v10, 16, v20
	s_wait_alu 0xf1ff
	v_cndmask_b32_e64 v14, v15, v14, s0
	v_add_co_u32 v2, s0, v12, s6
	v_or_b32_e32 v15, 0x1000, v18
	s_wait_alu 0xf1ff
	v_add_co_ci_u32_e64 v3, s0, s7, v13, s0
	v_and_b32_e32 v20, 7, v14
	v_lshrrev_b32_e32 v14, 2, v14
	v_lshrrev_b32_e32 v21, v19, v15
	s_wait_dscnt 0x0
	v_lshrrev_b32_e32 v22, 16, v8
	global_store_b32 v[2:3], v10, off
	v_cmp_lt_i32_e64 s0, 5, v20
	v_cmp_eq_u32_e64 s1, 3, v20
	v_lshlrev_b32_e32 v12, v19, v21
	v_mul_f64_e32 v[0:1], s[8:9], v[0:1]
	s_delay_alu instid0(VALU_DEP_3) | instskip(NEXT) | instid1(VALU_DEP_2)
	s_or_b32 s0, s1, s0
	v_cmp_ne_u32_e64 s2, v12, v15
	s_wait_alu 0xfffe
	v_add_co_ci_u32_e64 v14, s0, 0, v14, s0
	v_add_nc_u32_e32 v15, 0xfffffc10, v29
	v_cmp_ne_u32_e64 s0, 0, v4
	s_wait_alu 0xf1ff
	v_cndmask_b32_e64 v12, 0, 1, s2
	v_and_or_b32 v6, 0x1ff, v7, v6
	v_lshl_or_b32 v20, v15, 12, v18
	v_cndmask_b32_e64 v4, 0, 1, s0
	s_delay_alu instid0(VALU_DEP_4) | instskip(SKIP_2) | instid1(VALU_DEP_4)
	v_or_b32_e32 v19, v21, v12
	v_cmp_gt_i32_e64 s0, 1, v15
	v_bfe_u32 v21, v7, 20, 11
	v_lshl_or_b32 v4, v4, 9, 0x7c00
	s_wait_alu 0xf1ff
	s_delay_alu instid0(VALU_DEP_3) | instskip(SKIP_3) | instid1(VALU_DEP_4)
	v_cndmask_b32_e64 v19, v20, v19, s0
	v_cmp_ne_u32_e64 s0, 0, v6
	v_lshrrev_b32_e32 v20, 8, v7
	v_lshrrev_b32_e32 v7, 16, v7
	v_and_b32_e32 v26, 7, v19
	s_wait_alu 0xf1ff
	v_cndmask_b32_e64 v6, 0, 1, s0
	v_cmp_gt_i32_e64 s0, 31, v25
	s_delay_alu instid0(VALU_DEP_3) | instskip(NEXT) | instid1(VALU_DEP_3)
	v_cmp_eq_u32_e64 s1, 3, v26
	v_and_or_b32 v6, 0xffe, v20, v6
	s_wait_alu 0xf1ff
	s_delay_alu instid0(VALU_DEP_3)
	v_cndmask_b32_e64 v14, 0x7c00, v14, s0
	v_sub_nc_u32_e32 v20, 0x3f1, v21
	v_cmp_eq_u32_e64 s0, 0x40f, v25
	v_lshrrev_b32_e32 v25, 16, v5
	v_lshrrev_b32_e32 v5, 2, v19
	v_add_nc_u32_e32 v21, 0xfffffc10, v21
	v_med3_i32 v20, v20, 0, 13
	s_wait_alu 0xf1ff
	v_cndmask_b32_e64 v14, v14, v4, s0
	v_or_b32_e32 v4, 0x1000, v6
	v_cmp_lt_i32_e64 s0, 5, v26
	v_and_or_b32 v0, 0x1ff, v1, v0
	s_delay_alu instid0(VALU_DEP_4) | instskip(NEXT) | instid1(VALU_DEP_4)
	v_and_or_b32 v10, 0x8000, v25, v14
	v_lshrrev_b32_e32 v19, v20, v4
	s_delay_alu instid0(VALU_DEP_4) | instskip(SKIP_2) | instid1(VALU_DEP_2)
	s_or_b32 s0, s1, s0
	s_wait_alu 0xfffe
	v_add_co_ci_u32_e64 v26, s0, 0, v5, s0
	v_lshlrev_b32_e32 v5, v20, v19
	v_cmp_ne_u32_e64 s0, 0, v0
	v_lshrrev_b32_e32 v20, 8, v1
	s_wait_alu 0xf1ff
	s_delay_alu instid0(VALU_DEP_2) | instskip(SKIP_1) | instid1(VALU_DEP_2)
	v_cndmask_b32_e64 v0, 0, 1, s0
	v_cmp_ne_u32_e64 s0, v5, v4
	v_and_or_b32 v0, 0xffe, v20, v0
	s_wait_loadcnt 0x0
	v_mul_f16_e32 v13, v28, v22
	s_delay_alu instid0(VALU_DEP_1) | instskip(SKIP_1) | instid1(VALU_DEP_2)
	v_fmac_f16_e32 v13, v27, v8
	v_mul_f16_e32 v8, v28, v8
	v_cvt_f32_f16_e32 v12, v13
	s_delay_alu instid0(VALU_DEP_2)
	v_fma_f16 v8, v27, v22, -v8
	v_bfe_u32 v22, v1, 20, 11
	s_wait_alu 0xf1ff
	v_cndmask_b32_e64 v27, 0, 1, s0
	v_cmp_ne_u32_e64 s0, 0, v18
	v_cvt_f64_f32_e32 v[12:13], v12
	v_cvt_f32_f16_e32 v8, v8
	v_sub_nc_u32_e32 v20, 0x3f1, v22
	v_or_b32_e32 v18, v19, v27
	v_lshl_or_b32 v19, v21, 12, v6
	v_or_b32_e32 v27, 0x1000, v0
	v_add_nc_u32_e32 v14, 0xfffffc10, v22
	v_med3_i32 v20, v20, 0, 13
	v_mul_f64_e32 v[4:5], s[8:9], v[12:13]
	v_cvt_f64_f32_e32 v[12:13], v8
	s_wait_alu 0xf1ff
	v_cndmask_b32_e64 v8, 0, 1, s0
	v_cmp_gt_i32_e64 s0, 31, v15
	s_delay_alu instid0(VALU_DEP_2) | instskip(SKIP_1) | instid1(VALU_DEP_2)
	v_lshl_or_b32 v8, v8, 9, 0x7c00
	s_wait_alu 0xf1ff
	v_cndmask_b32_e64 v26, 0x7c00, v26, s0
	v_cmp_gt_i32_e64 s0, 1, v21
	s_wait_alu 0xf1ff
	s_delay_alu instid0(VALU_DEP_1) | instskip(SKIP_2) | instid1(VALU_DEP_3)
	v_cndmask_b32_e64 v18, v19, v18, s0
	v_lshrrev_b32_e32 v19, v20, v27
	v_cmp_eq_u32_e64 s0, 0x40f, v15
	v_and_b32_e32 v15, 7, v18
	s_delay_alu instid0(VALU_DEP_3) | instskip(SKIP_1) | instid1(VALU_DEP_3)
	v_lshlrev_b32_e32 v20, v20, v19
	s_wait_alu 0xf1ff
	v_cndmask_b32_e64 v8, v26, v8, s0
	scratch_load_b32 v26, off, off offset:68 th:TH_LOAD_LU ; 4-byte Folded Reload
	v_cmp_lt_i32_e64 s0, 5, v15
	v_cmp_ne_u32_e64 s1, v20, v27
	scratch_load_b32 v27, off, off offset:80 th:TH_LOAD_LU ; 4-byte Folded Reload
	v_and_or_b32 v8, 0x8000, v11, v8
	v_lshrrev_b32_e32 v20, 16, v9
	s_wait_alu 0xf1ff
	v_cndmask_b32_e64 v11, 0, 1, s1
	v_cmp_eq_u32_e64 s1, 3, v15
	v_and_b32_e32 v15, 0xffff, v10
	v_lshrrev_b32_e32 v10, 2, v18
	v_lshl_or_b32 v18, v14, 12, v0
	v_or_b32_e32 v11, v19, v11
	s_or_b32 s0, s1, s0
	v_lshl_or_b32 v15, v8, 16, v15
	s_wait_alu 0xfffe
	v_add_co_ci_u32_e64 v19, s0, 0, v10, s0
	v_cmp_ne_u32_e64 s0, 0, v6
	v_and_or_b32 v4, 0x1ff, v5, v4
	v_lshrrev_b32_e32 v22, 8, v5
	v_bfe_u32 v25, v5, 20, 11
	s_wait_alu 0xf1ff
	v_cndmask_b32_e64 v6, 0, 1, s0
	v_cmp_gt_i32_e64 s0, 1, v14
	s_delay_alu instid0(VALU_DEP_2) | instskip(SKIP_1) | instid1(VALU_DEP_2)
	v_lshl_or_b32 v6, v6, 9, 0x7c00
	s_wait_alu 0xf1ff
	v_cndmask_b32_e64 v18, v18, v11, s0
	v_cmp_gt_i32_e64 s0, 31, v21
	v_mul_f64_e32 v[10:11], s[8:9], v[12:13]
	s_delay_alu instid0(VALU_DEP_3) | instskip(SKIP_1) | instid1(VALU_DEP_3)
	v_and_b32_e32 v13, 7, v18
	s_wait_alu 0xf1ff
	v_cndmask_b32_e64 v12, 0x7c00, v19, s0
	v_cmp_ne_u32_e64 s0, 0, v4
	v_lshrrev_b32_e32 v18, 2, v18
	v_cmp_eq_u32_e64 s1, 3, v13
	s_wait_alu 0xf1ff
	s_delay_alu instid0(VALU_DEP_3) | instskip(SKIP_1) | instid1(VALU_DEP_2)
	v_cndmask_b32_e64 v4, 0, 1, s0
	v_cmp_eq_u32_e64 s0, 0x40f, v21
	v_and_or_b32 v4, 0xffe, v22, v4
	s_wait_alu 0xf1ff
	s_delay_alu instid0(VALU_DEP_2) | instskip(SKIP_1) | instid1(VALU_DEP_3)
	v_cndmask_b32_e64 v6, v12, v6, s0
	v_cmp_lt_i32_e64 s0, 5, v13
	v_or_b32_e32 v21, 0x1000, v4
	s_delay_alu instid0(VALU_DEP_2) | instskip(SKIP_4) | instid1(VALU_DEP_1)
	s_or_b32 s0, s1, s0
	s_wait_alu 0xfffe
	v_add_co_ci_u32_e64 v18, s0, 0, v18, s0
	v_cmp_ne_u32_e64 s0, 0, v0
	s_wait_alu 0xf1ff
	v_cndmask_b32_e64 v0, 0, 1, s0
	v_cmp_gt_i32_e64 s0, 31, v14
	s_delay_alu instid0(VALU_DEP_2) | instskip(SKIP_1) | instid1(VALU_DEP_2)
	v_lshl_or_b32 v0, v0, 9, 0x7c00
	s_wait_alu 0xf1ff
	v_cndmask_b32_e64 v18, 0x7c00, v18, s0
	v_cmp_eq_u32_e64 s0, 0x40f, v14
	s_wait_alu 0xf1ff
	s_delay_alu instid0(VALU_DEP_1)
	v_cndmask_b32_e64 v14, v18, v0, s0
	v_and_or_b32 v0, 0x1ff, v11, v10
	v_bfe_u32 v18, v11, 20, 11
	v_add_nc_u32_e32 v10, 0xfffffc10, v25
	s_wait_loadcnt 0x0
	v_mul_f16_e32 v19, v27, v20
	s_delay_alu instid0(VALU_DEP_1) | instskip(NEXT) | instid1(VALU_DEP_1)
	v_fmac_f16_e32 v19, v26, v9
	v_cvt_f32_f16_e32 v12, v19
	v_sub_nc_u32_e32 v19, 0x3f1, v25
	s_delay_alu instid0(VALU_DEP_2) | instskip(NEXT) | instid1(VALU_DEP_2)
	v_cvt_f64_f32_e32 v[12:13], v12
	v_med3_i32 v19, v19, 0, 13
	s_delay_alu instid0(VALU_DEP_1) | instskip(NEXT) | instid1(VALU_DEP_1)
	v_lshrrev_b32_e32 v22, v19, v21
	v_lshlrev_b32_e32 v8, v19, v22
	v_and_or_b32 v19, 0x8000, v7, v6
	v_mul_f16_e32 v7, v27, v9
	scratch_load_b32 v27, off, off offset:60 th:TH_LOAD_LU ; 4-byte Folded Reload
	v_lshl_or_b32 v9, v10, 12, v4
	v_cmp_ne_u32_e64 s0, v8, v21
	v_lshrrev_b32_e32 v8, 8, v11
	v_fma_f16 v7, v26, v20, -v7
	v_lshrrev_b32_e32 v26, 16, v1
	v_and_b32_e32 v19, 0xffff, v19
	s_wait_alu 0xf1ff
	v_cndmask_b32_e64 v6, 0, 1, s0
	v_cmp_ne_u32_e64 s0, 0, v0
	v_cvt_f32_f16_e32 v7, v7
	v_and_or_b32 v14, 0x8000, v26, v14
	scratch_load_b32 v26, off, off offset:72 th:TH_LOAD_LU ; 4-byte Folded Reload
	v_or_b32_e32 v6, v22, v6
	s_wait_alu 0xf1ff
	v_cndmask_b32_e64 v0, 0, 1, s0
	v_cmp_gt_i32_e64 s0, 1, v10
	v_lshl_or_b32 v14, v14, 16, v19
	s_delay_alu instid0(VALU_DEP_3)
	v_and_or_b32 v20, 0xffe, v8, v0
	v_sub_nc_u32_e32 v0, 0x3f1, v18
	s_wait_alu 0xf1ff
	v_cndmask_b32_e64 v21, v9, v6, s0
	v_cvt_f64_f32_e32 v[6:7], v7
	v_add_co_u32 v2, s0, v2, s6
	v_med3_i32 v25, v0, 0, 13
	v_mul_f64_e32 v[0:1], s[8:9], v[12:13]
	v_or_b32_e32 v22, 0x1000, v20
	v_and_b32_e32 v12, 7, v21
	ds_load_2addr_b32 v[8:9], v62 offset0:136 offset1:217
	s_wait_alu 0xf1ff
	v_add_co_ci_u32_e64 v3, s0, s7, v3, s0
	v_lshrrev_b32_e32 v13, v25, v22
	v_cmp_lt_i32_e64 s0, 5, v12
	v_cmp_eq_u32_e64 s1, 3, v12
	v_lshrrev_b32_e32 v12, 2, v21
	v_add_nc_u32_e32 v18, 0xfffffc10, v18
	v_lshlrev_b32_e32 v25, v25, v13
	s_delay_alu instid0(VALU_DEP_4) | instskip(SKIP_2) | instid1(VALU_DEP_2)
	s_or_b32 s0, s1, s0
	s_wait_alu 0xfffe
	v_add_co_ci_u32_e64 v12, s0, 0, v12, s0
	v_cmp_ne_u32_e64 s2, v25, v22
	v_cmp_ne_u32_e64 s0, 0, v4
	s_wait_alu 0xf1ff
	s_delay_alu instid0(VALU_DEP_2) | instskip(NEXT) | instid1(VALU_DEP_2)
	v_cndmask_b32_e64 v21, 0, 1, s2
	v_cndmask_b32_e64 v4, 0, 1, s0
	v_cmp_gt_i32_e64 s0, 31, v10
	s_wait_dscnt 0x0
	v_lshrrev_b32_e32 v22, 16, v8
	v_or_b32_e32 v13, v13, v21
	v_lshl_or_b32 v21, v18, 12, v20
	s_wait_alu 0xf1ff
	v_cndmask_b32_e64 v12, 0x7c00, v12, s0
	v_cmp_gt_i32_e64 s0, 1, v18
	v_lshl_or_b32 v4, v4, 9, 0x7c00
	s_wait_alu 0xf1ff
	s_delay_alu instid0(VALU_DEP_2) | instskip(SKIP_3) | instid1(VALU_DEP_4)
	v_cndmask_b32_e64 v13, v21, v13, s0
	v_cmp_eq_u32_e64 s0, 0x40f, v10
	v_lshrrev_b32_e32 v21, 16, v5
	v_and_or_b32 v0, 0x1ff, v1, v0
	v_and_b32_e32 v10, 7, v13
	s_wait_alu 0xf1ff
	v_cndmask_b32_e64 v12, v12, v4, s0
	v_mul_f64_e32 v[4:5], s[8:9], v[6:7]
	v_cmp_ne_u32_e64 s2, 0, v0
	v_cmp_lt_i32_e64 s0, 5, v10
	v_cmp_eq_u32_e64 s1, 3, v10
	v_lshrrev_b32_e32 v10, 2, v13
	s_wait_alu 0xf1ff
	v_cndmask_b32_e64 v0, 0, 1, s2
	v_lshrrev_b32_e32 v13, 8, v1
	v_and_or_b32 v21, 0x8000, v21, v12
	s_or_b32 s0, s1, s0
	s_wait_alu 0xfffe
	v_add_co_ci_u32_e64 v10, s0, 0, v10, s0
	v_and_or_b32 v0, 0xffe, v13, v0
	v_cmp_ne_u32_e64 s0, 0, v20
	v_and_b32_e32 v21, 0xffff, v21
	s_delay_alu instid0(VALU_DEP_3) | instskip(SKIP_1) | instid1(VALU_DEP_3)
	v_or_b32_e32 v25, 0x1000, v0
	s_wait_alu 0xf1ff
	v_cndmask_b32_e64 v20, 0, 1, s0
	v_cmp_gt_i32_e64 s0, 31, v18
	s_delay_alu instid0(VALU_DEP_2) | instskip(SKIP_1) | instid1(VALU_DEP_2)
	v_lshl_or_b32 v20, v20, 9, 0x7c00
	s_wait_alu 0xf1ff
	v_cndmask_b32_e64 v10, 0x7c00, v10, s0
	v_cmp_eq_u32_e64 s0, 0x40f, v18
	s_wait_alu 0xf1ff
	s_delay_alu instid0(VALU_DEP_1)
	v_cndmask_b32_e64 v18, v10, v20, s0
	v_add_co_u32 v10, s0, v2, s6
	v_lshrrev_b32_e32 v20, 16, v11
	s_wait_alu 0xf1ff
	v_add_co_ci_u32_e64 v11, s0, s7, v3, s0
	global_store_b32 v[2:3], v15, off
	global_store_b32 v[10:11], v14, off
	v_and_or_b32 v18, 0x8000, v20, v18
	v_and_or_b32 v4, 0x1ff, v5, v4
	s_clause 0x2
	scratch_load_b32 v28, off, off offset:56 th:TH_LOAD_LU
	scratch_load_b32 v30, off, off offset:48 th:TH_LOAD_LU
	;; [unrolled: 1-line block ×3, first 2 shown]
	v_lshl_or_b32 v14, v18, 16, v21
	s_wait_loadcnt 0x3
	v_mul_f16_e32 v19, v26, v22
	s_delay_alu instid0(VALU_DEP_1) | instskip(SKIP_1) | instid1(VALU_DEP_2)
	v_fmac_f16_e32 v19, v27, v8
	v_mul_f16_e32 v8, v26, v8
	v_cvt_f32_f16_e32 v6, v19
	v_bfe_u32 v19, v1, 20, 11
	s_delay_alu instid0(VALU_DEP_3)
	v_fma_f16 v8, v27, v22, -v8
	scratch_load_b32 v27, off, off offset:52 th:TH_LOAD_LU ; 4-byte Folded Reload
	v_bfe_u32 v22, v5, 20, 11
	v_cvt_f64_f32_e32 v[6:7], v6
	v_sub_nc_u32_e32 v13, 0x3f1, v19
	v_cvt_f32_f16_e32 v8, v8
	v_add_nc_u32_e32 v19, 0xfffffc10, v19
	s_delay_alu instid0(VALU_DEP_3) | instskip(NEXT) | instid1(VALU_DEP_1)
	v_med3_i32 v13, v13, 0, 13
	v_lshrrev_b32_e32 v26, v13, v25
	s_delay_alu instid0(VALU_DEP_1) | instskip(NEXT) | instid1(VALU_DEP_1)
	v_lshlrev_b32_e32 v13, v13, v26
	v_cmp_ne_u32_e64 s0, v13, v25
	v_cvt_f64_f32_e32 v[12:13], v8
	v_lshrrev_b32_e32 v8, 8, v5
	v_lshl_or_b32 v25, v19, 12, v0
	v_lshrrev_b32_e32 v5, 16, v5
	s_wait_alu 0xf1ff
	v_cndmask_b32_e64 v20, 0, 1, s0
	v_cmp_ne_u32_e64 s0, 0, v4
	s_delay_alu instid0(VALU_DEP_2)
	v_or_b32_e32 v20, v26, v20
	scratch_load_b32 v26, off, off offset:64 th:TH_LOAD_LU ; 4-byte Folded Reload
	s_wait_alu 0xf1ff
	v_cndmask_b32_e64 v4, 0, 1, s0
	v_cmp_gt_i32_e64 s0, 1, v19
	v_mul_f64_e32 v[6:7], s[8:9], v[6:7]
	s_delay_alu instid0(VALU_DEP_3)
	v_and_or_b32 v4, 0xffe, v8, v4
	v_sub_nc_u32_e32 v8, 0x3f1, v22
	s_wait_alu 0xf1ff
	v_cndmask_b32_e64 v20, v25, v20, s0
	v_add_co_u32 v2, s0, v10, s6
	v_or_b32_e32 v25, 0x1000, v4
	v_med3_i32 v8, v8, 0, 13
	s_delay_alu instid0(VALU_DEP_4)
	v_and_b32_e32 v15, 7, v20
	s_wait_alu 0xf1ff
	v_add_co_ci_u32_e64 v3, s0, s7, v11, s0
	v_lshrrev_b32_e32 v10, 2, v20
	v_lshrrev_b32_e32 v18, v8, v25
	v_cmp_lt_i32_e64 s0, 5, v15
	v_cmp_eq_u32_e64 s1, 3, v15
	v_add_nc_u32_e32 v20, 0xfffffc10, v22
	v_lshrrev_b32_e32 v15, 16, v9
	v_lshlrev_b32_e32 v8, v8, v18
	global_store_b32 v[2:3], v14, off
	s_or_b32 s0, s1, s0
	s_wait_alu 0xfffe
	v_add_co_ci_u32_e64 v22, s0, 0, v10, s0
	v_cmp_ne_u32_e64 s2, v8, v25
	v_cmp_gt_i32_e64 s0, 31, v19
	v_mul_f64_e32 v[10:11], s[8:9], v[12:13]
	s_wait_alu 0xf1ff
	s_delay_alu instid0(VALU_DEP_3) | instskip(NEXT) | instid1(VALU_DEP_3)
	v_cndmask_b32_e64 v8, 0, 1, s2
	v_cndmask_b32_e64 v22, 0x7c00, v22, s0
	v_cmp_gt_i32_e64 s0, 1, v20
	v_cmp_eq_u32_e64 s2, 0x40f, v19
	s_delay_alu instid0(VALU_DEP_4) | instskip(SKIP_3) | instid1(VALU_DEP_2)
	v_or_b32_e32 v8, v18, v8
	v_lshl_or_b32 v18, v20, 12, v4
	v_and_or_b32 v6, 0x1ff, v7, v6
	s_wait_alu 0xf1ff
	v_cndmask_b32_e64 v8, v18, v8, s0
	v_cmp_ne_u32_e64 s0, 0, v0
	v_bfe_u32 v25, v7, 20, 11
	s_delay_alu instid0(VALU_DEP_3) | instskip(SKIP_1) | instid1(VALU_DEP_3)
	v_and_b32_e32 v18, 7, v8
	s_wait_alu 0xf1ff
	v_cndmask_b32_e64 v0, 0, 1, s0
	v_cmp_ne_u32_e64 s0, 0, v6
	s_delay_alu instid0(VALU_DEP_3) | instskip(NEXT) | instid1(VALU_DEP_3)
	v_cmp_eq_u32_e64 s1, 3, v18
	v_lshl_or_b32 v0, v0, 9, 0x7c00
	s_wait_alu 0xf1ff
	s_delay_alu instid0(VALU_DEP_3) | instskip(SKIP_4) | instid1(VALU_DEP_4)
	v_cndmask_b32_e64 v6, 0, 1, s0
	v_cmp_lt_i32_e64 s0, 5, v18
	v_sub_nc_u32_e32 v18, 0x3f1, v25
	v_cndmask_b32_e64 v19, v22, v0, s2
	v_lshrrev_b32_e32 v0, 2, v8
	s_or_b32 s0, s1, s0
	s_delay_alu instid0(VALU_DEP_3) | instskip(SKIP_4) | instid1(VALU_DEP_3)
	v_med3_i32 v18, v18, 0, 13
	v_lshrrev_b32_e32 v22, 16, v1
	s_wait_alu 0xfffe
	v_add_co_ci_u32_e64 v0, s0, 0, v0, s0
	v_cmp_gt_i32_e64 s0, 31, v20
	v_and_or_b32 v19, 0x8000, v22, v19
	s_delay_alu instid0(VALU_DEP_1) | instskip(SKIP_2) | instid1(VALU_DEP_1)
	v_and_b32_e32 v19, 0xffff, v19
	s_wait_loadcnt 0x0
	v_mul_f16_e32 v21, v26, v15
	v_fmac_f16_e32 v21, v27, v9
	v_mul_f16_e32 v9, v26, v9
	s_wait_alu 0xf1ff
	v_cndmask_b32_e64 v26, 0x7c00, v0, s0
	v_cmp_ne_u32_e64 s0, 0, v4
	v_cvt_f32_f16_e32 v12, v21
	v_lshrrev_b32_e32 v21, 8, v7
	v_fma_f16 v0, v27, v15, -v9
	s_wait_alu 0xf1ff
	v_cndmask_b32_e64 v4, 0, 1, s0
	v_and_or_b32 v9, 0x1ff, v11, v10
	v_cvt_f64_f32_e32 v[12:13], v12
	v_and_or_b32 v6, 0xffe, v21, v6
	v_add_nc_u32_e32 v10, 0xfffffc10, v25
	v_bfe_u32 v25, v11, 20, 11
	v_lshl_or_b32 v4, v4, 9, 0x7c00
	v_cvt_f32_f16_e32 v0, v0
	v_or_b32_e32 v8, 0x1000, v6
	v_lshrrev_b32_e32 v7, 16, v7
	s_delay_alu instid0(VALU_DEP_2) | instskip(NEXT) | instid1(VALU_DEP_1)
	v_lshrrev_b32_e32 v21, v18, v8
	v_lshlrev_b32_e32 v1, v18, v21
	v_lshrrev_b32_e32 v18, 8, v11
	v_lshrrev_b32_e32 v11, 16, v11
	s_delay_alu instid0(VALU_DEP_3) | instskip(SKIP_2) | instid1(VALU_DEP_2)
	v_cmp_ne_u32_e64 s0, v1, v8
	v_cvt_f64_f32_e32 v[0:1], v0
	s_wait_alu 0xf1ff
	v_cndmask_b32_e64 v8, 0, 1, s0
	v_cmp_ne_u32_e64 s0, 0, v9
	s_delay_alu instid0(VALU_DEP_2) | instskip(SKIP_1) | instid1(VALU_DEP_2)
	v_or_b32_e32 v21, v21, v8
	s_wait_alu 0xf1ff
	v_cndmask_b32_e64 v15, 0, 1, s0
	v_cmp_gt_i32_e64 s0, 1, v10
	s_delay_alu instid0(VALU_DEP_2) | instskip(SKIP_4) | instid1(VALU_DEP_2)
	v_and_or_b32 v15, 0xffe, v18, v15
	v_mul_f64_e32 v[8:9], s[8:9], v[12:13]
	v_lshl_or_b32 v12, v10, 12, v6
	v_sub_nc_u32_e32 v13, 0x3f1, v25
	s_wait_alu 0xf1ff
	v_cndmask_b32_e64 v18, v12, v21, s0
	v_or_b32_e32 v21, 0x1000, v15
	s_delay_alu instid0(VALU_DEP_3)
	v_med3_i32 v27, v13, 0, 13
	v_cmp_eq_u32_e64 s0, 0x40f, v20
	ds_load_2addr_b32 v[12:13], v61 offset0:42 offset1:123
	v_and_b32_e32 v22, 7, v18
	v_lshrrev_b32_e32 v20, v27, v21
	s_wait_alu 0xf1ff
	v_cndmask_b32_e64 v4, v26, v4, s0
	s_delay_alu instid0(VALU_DEP_3) | instskip(SKIP_1) | instid1(VALU_DEP_3)
	v_cmp_lt_i32_e64 s0, 5, v22
	v_cmp_eq_u32_e64 s1, 3, v22
	v_and_or_b32 v14, 0x8000, v5, v4
	v_lshlrev_b32_e32 v4, v27, v20
	scratch_load_b32 v27, off, off offset:44 th:TH_LOAD_LU ; 4-byte Folded Reload
	v_lshrrev_b32_e32 v5, 2, v18
	s_or_b32 s0, s1, s0
	v_add_nc_u32_e32 v18, 0xfffffc10, v25
	v_cmp_ne_u32_e64 s2, v4, v21
	v_mul_f64_e32 v[0:1], s[8:9], v[0:1]
	s_wait_alu 0xfffe
	v_add_co_ci_u32_e64 v5, s0, 0, v5, s0
	v_cmp_ne_u32_e64 s0, 0, v6
	s_wait_alu 0xf1ff
	v_cndmask_b32_e64 v4, 0, 1, s2
	v_lshl_or_b32 v21, v18, 12, v15
	v_cmp_eq_u32_e64 s2, 0x40f, v10
	v_lshl_or_b32 v19, v14, 16, v19
	v_cndmask_b32_e64 v6, 0, 1, s0
	v_or_b32_e32 v4, v20, v4
	s_wait_dscnt 0x0
	v_lshrrev_b32_e32 v20, 16, v12
	v_cmp_gt_i32_e64 s0, 1, v18
	v_bfe_u32 v26, v9, 20, 11
	v_lshl_or_b32 v6, v6, 9, 0x7c00
	s_delay_alu instid0(VALU_DEP_4)
	v_mul_f16_e32 v22, v28, v20
	s_wait_alu 0xf1ff
	v_cndmask_b32_e64 v21, v21, v4, s0
	v_and_or_b32 v4, 0x1ff, v9, v8
	v_cmp_gt_i32_e64 s0, 31, v10
	s_wait_alu 0xf1ff
	s_delay_alu instid0(VALU_DEP_1) | instskip(NEXT) | instid1(VALU_DEP_3)
	v_cndmask_b32_e64 v8, 0x7c00, v5, s0
	v_cmp_ne_u32_e64 s0, 0, v4
	v_and_b32_e32 v5, 7, v21
	s_delay_alu instid0(VALU_DEP_3) | instskip(SKIP_1) | instid1(VALU_DEP_3)
	v_cndmask_b32_e64 v6, v8, v6, s2
	s_wait_alu 0xf1ff
	v_cndmask_b32_e64 v25, 0, 1, s0
	s_delay_alu instid0(VALU_DEP_3) | instskip(SKIP_4) | instid1(VALU_DEP_4)
	v_cmp_lt_i32_e64 s0, 5, v5
	v_cmp_eq_u32_e64 s1, 3, v5
	v_lshrrev_b32_e32 v8, 2, v21
	v_and_or_b32 v14, 0x8000, v7, v6
	v_mul_f16_e32 v7, v28, v12
	s_or_b32 s0, s1, s0
	s_wait_alu 0xfffe
	v_add_co_ci_u32_e64 v8, s0, 0, v8, s0
	v_cmp_ne_u32_e64 s0, 0, v15
	v_and_or_b32 v0, 0x1ff, v1, v0
	s_wait_alu 0xf1ff
	s_delay_alu instid0(VALU_DEP_2) | instskip(SKIP_1) | instid1(VALU_DEP_2)
	v_cndmask_b32_e64 v15, 0, 1, s0
	v_cmp_gt_i32_e64 s0, 31, v18
	v_lshl_or_b32 v15, v15, 9, 0x7c00
	s_wait_alu 0xf1ff
	s_delay_alu instid0(VALU_DEP_2) | instskip(SKIP_3) | instid1(VALU_DEP_2)
	v_cndmask_b32_e64 v8, 0x7c00, v8, s0
	v_cmp_eq_u32_e64 s0, 0x40f, v18
	v_add_nc_u32_e32 v18, 0xfffffc10, v26
	s_wait_alu 0xf1ff
	v_cndmask_b32_e64 v8, v8, v15, s0
	s_delay_alu instid0(VALU_DEP_1)
	v_and_or_b32 v8, 0x8000, v11, v8
	v_and_b32_e32 v11, 0xffff, v14
	s_wait_loadcnt 0x0
	v_fmac_f16_e32 v22, v27, v12
	v_fma_f16 v7, v27, v20, -v7
	v_bfe_u32 v12, v1, 20, 11
	s_delay_alu instid0(VALU_DEP_3) | instskip(SKIP_2) | instid1(VALU_DEP_3)
	v_cvt_f32_f16_e32 v4, v22
	v_lshrrev_b32_e32 v22, 8, v9
	v_lshrrev_b32_e32 v9, 16, v9
	v_cvt_f64_f32_e32 v[4:5], v4
	s_delay_alu instid0(VALU_DEP_3) | instskip(SKIP_1) | instid1(VALU_DEP_2)
	v_and_or_b32 v22, 0xffe, v22, v25
	v_sub_nc_u32_e32 v25, 0x3f1, v26
	v_or_b32_e32 v10, 0x1000, v22
	s_delay_alu instid0(VALU_DEP_2) | instskip(SKIP_1) | instid1(VALU_DEP_2)
	v_med3_i32 v21, v25, 0, 13
	v_lshl_or_b32 v20, v18, 12, v22
	v_lshrrev_b32_e32 v25, v21, v10
	s_delay_alu instid0(VALU_DEP_1) | instskip(NEXT) | instid1(VALU_DEP_1)
	v_lshlrev_b32_e32 v6, v21, v25
	v_cmp_ne_u32_e64 s0, v6, v10
	v_lshrrev_b32_e32 v10, 8, v1
	s_wait_alu 0xf1ff
	s_delay_alu instid0(VALU_DEP_2) | instskip(SKIP_1) | instid1(VALU_DEP_2)
	v_cndmask_b32_e64 v6, 0, 1, s0
	v_cmp_ne_u32_e64 s0, 0, v0
	v_or_b32_e32 v15, v25, v6
	v_cvt_f32_f16_e32 v6, v7
	s_wait_alu 0xf1ff
	s_delay_alu instid0(VALU_DEP_3) | instskip(SKIP_3) | instid1(VALU_DEP_4)
	v_cndmask_b32_e64 v0, 0, 1, s0
	v_cmp_gt_i32_e64 s0, 1, v18
	v_mul_f64_e32 v[4:5], s[8:9], v[4:5]
	v_cvt_f64_f32_e32 v[6:7], v6
	v_and_or_b32 v0, 0xffe, v10, v0
	v_sub_nc_u32_e32 v10, 0x3f1, v12
	s_wait_alu 0xf1ff
	v_cndmask_b32_e64 v14, v20, v15, s0
	v_add_co_u32 v2, s0, v2, s6
	v_or_b32_e32 v21, 0x1000, v0
	v_med3_i32 v10, v10, 0, 13
	s_wait_alu 0xf1ff
	v_add_co_ci_u32_e64 v3, s0, s7, v3, s0
	v_lshl_or_b32 v20, v8, 16, v11
	v_and_b32_e32 v8, 7, v14
	v_lshrrev_b32_e32 v15, v10, v21
	v_add_nc_u32_e32 v12, 0xfffffc10, v12
	s_delay_alu instid0(VALU_DEP_3) | instskip(NEXT) | instid1(VALU_DEP_3)
	v_cmp_eq_u32_e64 s1, 3, v8
	v_lshlrev_b32_e32 v25, v10, v15
	v_add_co_u32 v10, s0, v2, s6
	s_wait_alu 0xf1ff
	v_add_co_ci_u32_e64 v11, s0, s7, v3, s0
	v_cmp_lt_i32_e64 s0, 5, v8
	v_lshrrev_b32_e32 v8, 2, v14
	v_cmp_ne_u32_e64 s2, v25, v21
	v_lshrrev_b32_e32 v21, 16, v13
	s_delay_alu instid0(VALU_DEP_4)
	s_or_b32 s0, s1, s0
	s_wait_alu 0xfffe
	v_add_co_ci_u32_e64 v8, s0, 0, v8, s0
	v_cndmask_b32_e64 v14, 0, 1, s2
	v_cmp_ne_u32_e64 s0, 0, v22
	v_mul_f16_e32 v25, v30, v21
	s_delay_alu instid0(VALU_DEP_3)
	v_or_b32_e32 v14, v15, v14
	v_lshl_or_b32 v15, v12, 12, v0
	s_wait_alu 0xf1ff
	v_cndmask_b32_e64 v22, 0, 1, s0
	v_cmp_gt_i32_e64 s0, 1, v12
	v_and_or_b32 v4, 0x1ff, v5, v4
	v_mul_f64_e32 v[6:7], s[8:9], v[6:7]
	v_fmac_f16_e32 v25, v29, v13
	v_lshl_or_b32 v22, v22, 9, 0x7c00
	s_wait_alu 0xf1ff
	v_cndmask_b32_e64 v26, v15, v14, s0
	v_cmp_gt_i32_e64 s0, 31, v18
	v_lshrrev_b32_e32 v27, 8, v5
	v_cvt_f32_f16_e32 v14, v25
	v_bfe_u32 v28, v5, 20, 11
	v_and_b32_e32 v25, 7, v26
	s_wait_alu 0xf1ff
	v_cndmask_b32_e64 v8, 0x7c00, v8, s0
	v_cmp_ne_u32_e64 s0, 0, v4
	v_mul_f16_e32 v13, v30, v13
	v_cvt_f64_f32_e32 v[14:15], v14
	v_cmp_eq_u32_e64 s1, 3, v25
	s_wait_alu 0xf1ff
	v_cndmask_b32_e64 v4, 0, 1, s0
	v_cmp_eq_u32_e64 s0, 0x40f, v18
	v_sub_nc_u32_e32 v18, 0x3f1, v28
	v_fma_f16 v13, v29, v21, -v13
	s_delay_alu instid0(VALU_DEP_4)
	v_and_or_b32 v4, 0xffe, v27, v4
	s_wait_alu 0xf1ff
	v_cndmask_b32_e64 v8, v8, v22, s0
	v_cmp_lt_i32_e64 s0, 5, v25
	v_lshrrev_b32_e32 v22, 2, v26
	v_med3_i32 v18, v18, 0, 13
	v_or_b32_e32 v25, 0x1000, v4
	v_cvt_f32_f16_e32 v13, v13
	s_or_b32 s0, s1, s0
	v_and_or_b32 v26, 0x8000, v9, v8
	s_wait_alu 0xfffe
	v_add_co_ci_u32_e64 v21, s0, 0, v22, s0
	v_cmp_ne_u32_e64 s0, 0, v0
	v_lshrrev_b32_e32 v22, v18, v25
	v_cvt_f64_f32_e32 v[8:9], v13
	s_wait_alu 0xf1ff
	s_delay_alu instid0(VALU_DEP_3) | instskip(SKIP_3) | instid1(VALU_DEP_4)
	v_cndmask_b32_e64 v0, 0, 1, s0
	v_cmp_gt_i32_e64 s0, 31, v12
	v_lshlrev_b32_e32 v13, v18, v22
	v_bfe_u32 v29, v7, 20, 11
	v_lshl_or_b32 v0, v0, 9, 0x7c00
	s_wait_alu 0xf1ff
	v_cndmask_b32_e64 v21, 0x7c00, v21, s0
	v_cmp_eq_u32_e64 s0, 0x40f, v12
	s_wait_alu 0xf1ff
	s_delay_alu instid0(VALU_DEP_1)
	v_cndmask_b32_e64 v18, v21, v0, s0
	v_and_or_b32 v0, 0x1ff, v7, v6
	v_cmp_ne_u32_e64 s0, v13, v25
	v_lshrrev_b32_e32 v6, 16, v1
	v_add_nc_u32_e32 v25, 0xfffffc10, v28
	v_lshrrev_b32_e32 v28, 8, v7
	ds_load_2addr_b32 v[12:13], v24 offset0:76 offset1:157
	s_wait_alu 0xf1ff
	v_cndmask_b32_e64 v21, 0, 1, s0
	v_cmp_ne_u32_e64 s0, 0, v0
	global_store_b32 v[2:3], v19, off
	global_store_b32 v[10:11], v20, off
	v_and_or_b32 v6, 0x8000, v6, v18
	v_mul_f64_e32 v[0:1], s[8:9], v[14:15]
	v_or_b32_e32 v14, v22, v21
	s_wait_alu 0xf1ff
	v_cndmask_b32_e64 v27, 0, 1, s0
	v_lshl_or_b32 v15, v25, 12, v4
	v_sub_nc_u32_e32 v21, 0x3f1, v29
	v_cmp_gt_i32_e64 s0, 1, v25
	v_and_b32_e32 v22, 0xffff, v26
	v_and_or_b32 v18, 0xffe, v28, v27
	s_clause 0x1
	scratch_load_b32 v28, off, off offset:36 th:TH_LOAD_LU
	scratch_load_b32 v27, off, off offset:32 th:TH_LOAD_LU
	s_wait_alu 0xf1ff
	v_cndmask_b32_e64 v14, v15, v14, s0
	v_med3_i32 v21, v21, 0, 13
	v_or_b32_e32 v15, 0x1000, v18
	v_add_co_u32 v2, s0, v10, s6
	s_delay_alu instid0(VALU_DEP_4)
	v_and_b32_e32 v19, 7, v14
	s_wait_alu 0xf1ff
	v_add_co_ci_u32_e64 v3, s0, s7, v11, s0
	v_lshrrev_b32_e32 v20, v21, v15
	v_lshl_or_b32 v6, v6, 16, v22
	s_wait_dscnt 0x0
	v_lshrrev_b32_e32 v22, 16, v12
	v_cmp_lt_i32_e64 s0, 5, v19
	v_cmp_eq_u32_e64 s1, 3, v19
	v_lshlrev_b32_e32 v10, v21, v20
	v_mul_f64_e32 v[8:9], s[8:9], v[8:9]
	v_lshrrev_b32_e32 v14, 2, v14
	s_clause 0x1
	scratch_load_b32 v31, off, off offset:20 th:TH_LOAD_LU
	scratch_load_b32 v30, off, off offset:16 th:TH_LOAD_LU
	v_cmp_ne_u32_e64 s2, v10, v15
	s_or_b32 s0, s1, s0
	v_add_nc_u32_e32 v15, 0xfffffc10, v29
	s_wait_alu 0xfffe
	v_add_co_ci_u32_e64 v14, s0, 0, v14, s0
	v_cndmask_b32_e64 v10, 0, 1, s2
	v_cmp_ne_u32_e64 s0, 0, v4
	v_lshrrev_b32_e32 v7, 16, v7
	global_store_b32 v[2:3], v6, off
	v_or_b32_e32 v19, v20, v10
	v_lshl_or_b32 v20, v15, 12, v18
	v_and_or_b32 v0, 0x1ff, v1, v0
	s_wait_alu 0xf1ff
	v_cndmask_b32_e64 v4, 0, 1, s0
	v_cmp_gt_i32_e64 s0, 1, v15
	v_bfe_u32 v21, v1, 20, 11
	s_delay_alu instid0(VALU_DEP_3) | instskip(SKIP_1) | instid1(VALU_DEP_3)
	v_lshl_or_b32 v4, v4, 9, 0x7c00
	s_wait_alu 0xf1ff
	v_cndmask_b32_e64 v19, v20, v19, s0
	v_cmp_ne_u32_e64 s0, 0, v0
	v_lshrrev_b32_e32 v20, 8, v1
	v_lshrrev_b32_e32 v1, 16, v1
	s_delay_alu instid0(VALU_DEP_4) | instskip(SKIP_3) | instid1(VALU_DEP_3)
	v_and_b32_e32 v26, 7, v19
	s_wait_alu 0xf1ff
	v_cndmask_b32_e64 v0, 0, 1, s0
	v_cmp_gt_i32_e64 s0, 31, v25
	v_cmp_eq_u32_e64 s1, 3, v26
	s_delay_alu instid0(VALU_DEP_3) | instskip(SKIP_1) | instid1(VALU_DEP_3)
	v_and_or_b32 v0, 0xffe, v20, v0
	s_wait_alu 0xf1ff
	v_cndmask_b32_e64 v14, 0x7c00, v14, s0
	v_sub_nc_u32_e32 v20, 0x3f1, v21
	v_cmp_eq_u32_e64 s0, 0x40f, v25
	v_lshrrev_b32_e32 v25, 16, v5
	v_lshrrev_b32_e32 v5, 2, v19
	v_and_or_b32 v8, 0x1ff, v9, v8
	v_med3_i32 v20, v20, 0, 13
	s_wait_alu 0xf1ff
	v_cndmask_b32_e64 v14, v14, v4, s0
	v_or_b32_e32 v4, 0x1000, v0
	v_cmp_lt_i32_e64 s0, 5, v26
	v_add_nc_u32_e32 v21, 0xfffffc10, v21
	s_delay_alu instid0(VALU_DEP_4) | instskip(NEXT) | instid1(VALU_DEP_4)
	v_and_or_b32 v6, 0x8000, v25, v14
	v_lshrrev_b32_e32 v19, v20, v4
	s_delay_alu instid0(VALU_DEP_4) | instskip(SKIP_2) | instid1(VALU_DEP_2)
	s_or_b32 s0, s1, s0
	s_wait_alu 0xfffe
	v_add_co_ci_u32_e64 v26, s0, 0, v5, s0
	v_lshlrev_b32_e32 v5, v20, v19
	v_cmp_ne_u32_e64 s0, 0, v8
	v_lshrrev_b32_e32 v20, 8, v9
	s_wait_alu 0xf1ff
	s_delay_alu instid0(VALU_DEP_2) | instskip(SKIP_1) | instid1(VALU_DEP_2)
	v_cndmask_b32_e64 v8, 0, 1, s0
	v_cmp_ne_u32_e64 s0, v5, v4
	v_and_or_b32 v8, 0xffe, v20, v8
	s_wait_loadcnt 0x3
	v_mul_f16_e32 v11, v28, v22
	s_wait_loadcnt 0x2
	s_delay_alu instid0(VALU_DEP_1)
	v_fmac_f16_e32 v11, v27, v12
	v_mul_f16_e32 v12, v28, v12
	scratch_load_b32 v28, off, off offset:28 th:TH_LOAD_LU ; 4-byte Folded Reload
	v_cvt_f32_f16_e32 v10, v11
	v_fma_f16 v12, v27, v22, -v12
	v_bfe_u32 v22, v9, 20, 11
	s_wait_alu 0xf1ff
	v_cndmask_b32_e64 v27, 0, 1, s0
	v_cmp_ne_u32_e64 s0, 0, v18
	v_cvt_f64_f32_e32 v[10:11], v10
	v_cvt_f32_f16_e32 v12, v12
	v_sub_nc_u32_e32 v20, 0x3f1, v22
	v_or_b32_e32 v18, v19, v27
	v_lshl_or_b32 v19, v21, 12, v0
	v_or_b32_e32 v27, 0x1000, v8
	v_add_nc_u32_e32 v14, 0xfffffc10, v22
	v_med3_i32 v20, v20, 0, 13
	v_mul_f64_e32 v[4:5], s[8:9], v[10:11]
	v_cvt_f64_f32_e32 v[10:11], v12
	s_wait_alu 0xf1ff
	v_cndmask_b32_e64 v12, 0, 1, s0
	v_cmp_gt_i32_e64 s0, 31, v15
	s_delay_alu instid0(VALU_DEP_2) | instskip(SKIP_1) | instid1(VALU_DEP_2)
	v_lshl_or_b32 v12, v12, 9, 0x7c00
	s_wait_alu 0xf1ff
	v_cndmask_b32_e64 v26, 0x7c00, v26, s0
	v_cmp_gt_i32_e64 s0, 1, v21
	s_wait_alu 0xf1ff
	s_delay_alu instid0(VALU_DEP_1) | instskip(SKIP_2) | instid1(VALU_DEP_3)
	v_cndmask_b32_e64 v18, v19, v18, s0
	v_lshrrev_b32_e32 v19, v20, v27
	v_cmp_eq_u32_e64 s0, 0x40f, v15
	v_and_b32_e32 v15, 7, v18
	s_delay_alu instid0(VALU_DEP_3) | instskip(SKIP_1) | instid1(VALU_DEP_3)
	v_lshlrev_b32_e32 v20, v20, v19
	s_wait_alu 0xf1ff
	v_cndmask_b32_e64 v12, v26, v12, s0
	s_delay_alu instid0(VALU_DEP_3) | instskip(NEXT) | instid1(VALU_DEP_3)
	v_cmp_lt_i32_e64 s0, 5, v15
	v_cmp_ne_u32_e64 s1, v20, v27
	scratch_load_b32 v27, off, off offset:24 th:TH_LOAD_LU ; 4-byte Folded Reload
	v_and_or_b32 v12, 0x8000, v7, v12
	v_lshrrev_b32_e32 v20, 16, v13
	s_wait_alu 0xf1ff
	v_cndmask_b32_e64 v7, 0, 1, s1
	v_cmp_eq_u32_e64 s1, 3, v15
	v_and_b32_e32 v15, 0xffff, v6
	v_lshrrev_b32_e32 v6, 2, v18
	v_lshl_or_b32 v18, v14, 12, v8
	v_or_b32_e32 v7, v19, v7
	s_or_b32 s0, s1, s0
	s_wait_alu 0xfffe
	v_add_co_ci_u32_e64 v19, s0, 0, v6, s0
	v_cmp_ne_u32_e64 s0, 0, v0
	v_and_or_b32 v4, 0x1ff, v5, v4
	v_lshrrev_b32_e32 v22, 8, v5
	v_bfe_u32 v25, v5, 20, 11
	v_lshrrev_b32_e32 v5, 16, v5
	s_wait_alu 0xf1ff
	v_cndmask_b32_e64 v0, 0, 1, s0
	v_cmp_gt_i32_e64 s0, 1, v14
	s_delay_alu instid0(VALU_DEP_2) | instskip(SKIP_1) | instid1(VALU_DEP_2)
	v_lshl_or_b32 v0, v0, 9, 0x7c00
	s_wait_alu 0xf1ff
	v_cndmask_b32_e64 v18, v18, v7, s0
	v_cmp_gt_i32_e64 s0, 31, v21
	v_mul_f64_e32 v[6:7], s[8:9], v[10:11]
	s_wait_alu 0xf1ff
	s_delay_alu instid0(VALU_DEP_2) | instskip(SKIP_4) | instid1(VALU_DEP_3)
	v_cndmask_b32_e64 v10, 0x7c00, v19, s0
	v_cmp_ne_u32_e64 s0, 0, v4
	v_and_b32_e32 v19, 7, v18
	v_lshrrev_b32_e32 v18, 2, v18
	s_wait_alu 0xf1ff
	v_cndmask_b32_e64 v4, 0, 1, s0
	v_cmp_eq_u32_e64 s0, 0x40f, v21
	v_cmp_eq_u32_e64 s1, 3, v19
	v_sub_nc_u32_e32 v21, 0x3f1, v25
	s_delay_alu instid0(VALU_DEP_4)
	v_and_or_b32 v4, 0xffe, v22, v4
	s_wait_alu 0xf1ff
	v_cndmask_b32_e64 v0, v10, v0, s0
	v_cmp_lt_i32_e64 s0, 5, v19
	v_med3_i32 v21, v21, 0, 13
	v_or_b32_e32 v19, 0x1000, v4
	s_delay_alu instid0(VALU_DEP_4) | instskip(NEXT) | instid1(VALU_DEP_4)
	v_and_or_b32 v26, 0x8000, v1, v0
	s_or_b32 s0, s1, s0
	s_wait_alu 0xfffe
	v_add_co_ci_u32_e64 v18, s0, 0, v18, s0
	v_cmp_ne_u32_e64 s0, 0, v8
	v_lshrrev_b32_e32 v22, v21, v19
	s_wait_alu 0xf1ff
	s_delay_alu instid0(VALU_DEP_2) | instskip(SKIP_1) | instid1(VALU_DEP_3)
	v_cndmask_b32_e64 v8, 0, 1, s0
	v_cmp_gt_i32_e64 s0, 31, v14
	v_lshlrev_b32_e32 v1, v21, v22
	s_delay_alu instid0(VALU_DEP_3) | instskip(SKIP_1) | instid1(VALU_DEP_3)
	v_lshl_or_b32 v8, v8, 9, 0x7c00
	s_wait_alu 0xf1ff
	v_cndmask_b32_e64 v18, 0x7c00, v18, s0
	v_cmp_eq_u32_e64 s0, 0x40f, v14
	v_and_or_b32 v6, 0x1ff, v7, v6
	v_lshrrev_b32_e32 v14, 16, v9
	v_lshrrev_b32_e32 v9, 8, v7
	s_wait_loadcnt 0x1
	v_mul_f16_e32 v11, v28, v20
	v_mul_f16_e32 v0, v28, v13
	s_wait_loadcnt 0x0
	s_delay_alu instid0(VALU_DEP_2)
	v_fmac_f16_e32 v11, v27, v13
	s_wait_alu 0xf1ff
	v_cndmask_b32_e64 v13, v18, v8, s0
	v_fma_f16 v0, v27, v20, -v0
	v_cmp_ne_u32_e64 s0, v1, v19
	v_add_nc_u32_e32 v18, 0xfffffc10, v25
	v_cvt_f32_f16_e32 v10, v11
	v_bfe_u32 v19, v7, 20, 11
	v_cvt_f32_f16_e32 v0, v0
	s_wait_alu 0xf1ff
	v_cndmask_b32_e64 v8, 0, 1, s0
	v_cmp_ne_u32_e64 s0, 0, v6
	v_cvt_f64_f32_e32 v[10:11], v10
	v_lshl_or_b32 v21, v18, 12, v4
	v_cvt_f64_f32_e32 v[0:1], v0
	v_or_b32_e32 v20, v22, v8
	s_wait_alu 0xf1ff
	v_cndmask_b32_e64 v6, 0, 1, s0
	v_sub_nc_u32_e32 v22, 0x3f1, v19
	v_cmp_gt_i32_e64 s0, 1, v18
	v_lshl_or_b32 v25, v12, 16, v15
	v_and_or_b32 v12, 0x8000, v14, v13
	v_and_or_b32 v6, 0xffe, v9, v6
	ds_load_2addr_b32 v[8:9], v23 offset0:110 offset1:191
	s_wait_alu 0xf1ff
	v_cndmask_b32_e64 v20, v21, v20, s0
	v_med3_i32 v22, v22, 0, 13
	v_and_b32_e32 v13, 0xffff, v26
	v_or_b32_e32 v21, 0x1000, v6
	v_add_co_u32 v2, s0, v2, s6
	v_and_b32_e32 v14, 7, v20
	s_delay_alu instid0(VALU_DEP_4) | instskip(NEXT) | instid1(VALU_DEP_4)
	v_lshl_or_b32 v26, v12, 16, v13
	v_lshrrev_b32_e32 v15, v22, v21
	s_wait_alu 0xf1ff
	v_add_co_ci_u32_e64 v3, s0, s7, v3, s0
	v_cmp_lt_i32_e64 s0, 5, v14
	v_cmp_eq_u32_e64 s1, 3, v14
	v_lshlrev_b32_e32 v12, v22, v15
	v_lshrrev_b32_e32 v13, 2, v20
	v_add_nc_u32_e32 v19, 0xfffffc10, v19
	s_delay_alu instid0(VALU_DEP_4) | instskip(NEXT) | instid1(VALU_DEP_3)
	s_or_b32 s0, s1, s0
	v_cmp_ne_u32_e64 s2, v12, v21
	s_wait_alu 0xfffe
	v_add_co_ci_u32_e64 v13, s0, 0, v13, s0
	s_wait_dscnt 0x0
	v_lshrrev_b32_e32 v22, 16, v8
	v_cmp_ne_u32_e64 s0, 0, v4
	s_wait_alu 0xf1ff
	v_cndmask_b32_e64 v12, 0, 1, s2
	s_delay_alu instid0(VALU_DEP_3) | instskip(SKIP_1) | instid1(VALU_DEP_3)
	v_mul_f16_e32 v14, v31, v22
	v_mul_f64_e32 v[10:11], s[8:9], v[10:11]
	v_or_b32_e32 v12, v15, v12
	v_lshl_or_b32 v15, v19, 12, v6
	v_cndmask_b32_e64 v4, 0, 1, s0
	v_cmp_gt_i32_e64 s0, 1, v19
	v_mul_f64_e32 v[0:1], s[8:9], v[0:1]
	v_fmac_f16_e32 v14, v30, v8
	s_delay_alu instid0(VALU_DEP_4) | instskip(SKIP_4) | instid1(VALU_DEP_3)
	v_lshl_or_b32 v4, v4, 9, 0x7c00
	s_wait_alu 0xf1ff
	v_cndmask_b32_e64 v20, v15, v12, s0
	v_cmp_gt_i32_e64 s0, 31, v18
	v_cvt_f32_f16_e32 v12, v14
	v_and_b32_e32 v27, 7, v20
	s_wait_alu 0xf1ff
	s_delay_alu instid0(VALU_DEP_3)
	v_cndmask_b32_e64 v21, 0x7c00, v13, s0
	v_add_co_u32 v14, s0, v2, s6
	s_wait_alu 0xf1ff
	v_add_co_ci_u32_e64 v15, s0, s7, v3, s0
	v_cmp_eq_u32_e64 s0, 0x40f, v18
	v_lshrrev_b32_e32 v20, 2, v20
	global_store_b32 v[2:3], v25, off
	global_store_b32 v[14:15], v26, off
	v_cvt_f64_f32_e32 v[12:13], v12
	s_wait_alu 0xf1ff
	v_cndmask_b32_e64 v4, v21, v4, s0
	v_cmp_lt_i32_e64 s0, 5, v27
	s_delay_alu instid0(VALU_DEP_2) | instskip(SKIP_4) | instid1(VALU_DEP_4)
	v_and_or_b32 v28, 0x8000, v5, v4
	v_and_or_b32 v10, 0x1ff, v11, v10
	v_lshrrev_b32_e32 v18, 8, v11
	v_bfe_u32 v21, v11, 20, 11
	v_lshrrev_b32_e32 v11, 16, v11
	v_cmp_ne_u32_e64 s1, 0, v10
	v_and_or_b32 v0, 0x1ff, v1, v0
	s_wait_alu 0xf1ff
	s_delay_alu instid0(VALU_DEP_2) | instskip(SKIP_1) | instid1(VALU_DEP_2)
	v_cndmask_b32_e64 v10, 0, 1, s1
	v_cmp_eq_u32_e64 s1, 3, v27
	v_and_or_b32 v10, 0xffe, v18, v10
	s_delay_alu instid0(VALU_DEP_2)
	s_or_b32 s0, s1, s0
	v_sub_nc_u32_e32 v18, 0x3f1, v21
	s_wait_alu 0xfffe
	v_add_co_ci_u32_e64 v20, s0, 0, v20, s0
	v_cmp_ne_u32_e64 s0, 0, v6
	v_or_b32_e32 v27, 0x1000, v10
	v_med3_i32 v18, v18, 0, 13
	v_mul_f64_e32 v[4:5], s[8:9], v[12:13]
	v_add_nc_u32_e32 v21, 0xfffffc10, v21
	s_wait_alu 0xf1ff
	v_cndmask_b32_e64 v6, 0, 1, s0
	v_cmp_gt_i32_e64 s0, 31, v19
	v_lshrrev_b32_e32 v29, v18, v27
	v_lshl_or_b32 v13, v21, 12, v10
	s_delay_alu instid0(VALU_DEP_4)
	v_lshl_or_b32 v6, v6, 9, 0x7c00
	s_wait_alu 0xf1ff
	v_cndmask_b32_e64 v20, 0x7c00, v20, s0
	v_cmp_eq_u32_e64 s0, 0x40f, v19
	v_cmp_eq_u32_e64 s2, 0x40f, v21
	s_wait_alu 0xf1ff
	s_delay_alu instid0(VALU_DEP_2)
	v_cndmask_b32_e64 v19, v20, v6, s0
	v_lshrrev_b32_e32 v20, 16, v7
	v_lshlrev_b32_e32 v6, v18, v29
	v_cmp_ne_u32_e64 s0, 0, v0
	v_mul_f16_e32 v7, v31, v8
	v_lshrrev_b32_e32 v8, 8, v1
	v_and_or_b32 v19, 0x8000, v20, v19
	v_and_b32_e32 v20, 0xffff, v28
	scratch_load_b32 v28, off, off offset:12 th:TH_LOAD_LU ; 4-byte Folded Reload
	s_wait_alu 0xf1ff
	v_cndmask_b32_e64 v0, 0, 1, s0
	v_cmp_ne_u32_e64 s0, v6, v27
	scratch_load_b32 v27, off, off offset:4 th:TH_LOAD_LU ; 4-byte Folded Reload
	v_bfe_u32 v18, v1, 20, 11
	v_fma_f16 v7, v30, v22, -v7
	v_and_or_b32 v0, 0xffe, v8, v0
	s_wait_alu 0xf1ff
	v_cndmask_b32_e64 v6, 0, 1, s0
	v_cmp_gt_i32_e64 s0, 1, v21
	v_sub_nc_u32_e32 v8, 0x3f1, v18
	v_lshl_or_b32 v19, v19, 16, v20
	v_or_b32_e32 v22, 0x1000, v0
	v_or_b32_e32 v12, v29, v6
	v_cvt_f32_f16_e32 v7, v7
	v_med3_i32 v8, v8, 0, 13
	v_lshrrev_b32_e32 v1, 16, v1
	v_and_or_b32 v4, 0x1ff, v5, v4
	s_wait_alu 0xf1ff
	v_cndmask_b32_e64 v12, v13, v12, s0
	v_add_co_u32 v2, s0, v14, s6
	v_lshrrev_b32_e32 v13, v8, v22
	s_wait_alu 0xf1ff
	v_add_co_ci_u32_e64 v3, s0, s7, v15, s0
	v_and_b32_e32 v20, 7, v12
	v_lshrrev_b32_e32 v12, 2, v12
	v_lshlrev_b32_e32 v8, v8, v13
	v_lshrrev_b32_e32 v14, 16, v9
	v_add_nc_u32_e32 v15, 0xfffffc10, v18
	v_cmp_lt_i32_e64 s0, 5, v20
	v_cvt_f64_f32_e32 v[6:7], v7
	v_cmp_ne_u32_e64 s1, v8, v22
	v_bfe_u32 v22, v5, 20, 11
	s_wait_alu 0xf1ff
	s_delay_alu instid0(VALU_DEP_2) | instskip(SKIP_1) | instid1(VALU_DEP_2)
	v_cndmask_b32_e64 v8, 0, 1, s1
	v_cmp_eq_u32_e64 s1, 3, v20
	v_or_b32_e32 v8, v13, v8
	s_delay_alu instid0(VALU_DEP_2)
	s_or_b32 s0, s1, s0
	v_lshl_or_b32 v13, v15, 12, v0
	s_wait_alu 0xfffe
	v_add_co_ci_u32_e64 v20, s0, 0, v12, s0
	v_cmp_gt_i32_e64 s0, 1, v15
	s_wait_alu 0xf1ff
	s_delay_alu instid0(VALU_DEP_1) | instskip(SKIP_1) | instid1(VALU_DEP_2)
	v_cndmask_b32_e64 v8, v13, v8, s0
	v_cmp_ne_u32_e64 s0, 0, v4
	v_and_b32_e32 v25, 7, v8
	s_wait_alu 0xf1ff
	s_delay_alu instid0(VALU_DEP_2) | instskip(SKIP_4) | instid1(VALU_DEP_3)
	v_cndmask_b32_e64 v4, 0, 1, s0
	v_cmp_ne_u32_e64 s0, 0, v10
	v_lshrrev_b32_e32 v8, 2, v8
	v_cmp_eq_u32_e64 s1, 3, v25
	s_wait_alu 0xf1ff
	v_cndmask_b32_e64 v10, 0, 1, s0
	v_cmp_gt_i32_e64 s0, 31, v21
	s_delay_alu instid0(VALU_DEP_2) | instskip(SKIP_1) | instid1(VALU_DEP_2)
	v_lshl_or_b32 v10, v10, 9, 0x7c00
	s_wait_alu 0xf1ff
	v_cndmask_b32_e64 v20, 0x7c00, v20, s0
	v_cmp_lt_i32_e64 s0, 5, v25
	v_mul_f64_e32 v[6:7], s[8:9], v[6:7]
	s_delay_alu instid0(VALU_DEP_3) | instskip(NEXT) | instid1(VALU_DEP_3)
	v_cndmask_b32_e64 v10, v20, v10, s2
	s_or_b32 s0, s1, s0
	s_wait_alu 0xfffe
	v_add_co_ci_u32_e64 v8, s0, 0, v8, s0
	v_cmp_ne_u32_e64 s0, 0, v0
	v_and_or_b32 v10, 0x8000, v11, v10
	s_wait_alu 0xf1ff
	s_delay_alu instid0(VALU_DEP_2) | instskip(SKIP_1) | instid1(VALU_DEP_3)
	v_cndmask_b32_e64 v0, 0, 1, s0
	v_cmp_gt_i32_e64 s0, 31, v15
	v_and_b32_e32 v10, 0xffff, v10
	s_delay_alu instid0(VALU_DEP_3) | instskip(SKIP_1) | instid1(VALU_DEP_3)
	v_lshl_or_b32 v0, v0, 9, 0x7c00
	s_wait_alu 0xf1ff
	v_cndmask_b32_e64 v8, 0x7c00, v8, s0
	v_and_or_b32 v6, 0x1ff, v7, v6
	s_wait_loadcnt 0x1
	v_mul_f16_e32 v18, v28, v14
	s_wait_loadcnt 0x0
	s_delay_alu instid0(VALU_DEP_1) | instskip(NEXT) | instid1(VALU_DEP_1)
	v_fmac_f16_e32 v18, v27, v9
	v_cvt_f32_f16_e32 v12, v18
	v_lshrrev_b32_e32 v18, 8, v5
	s_delay_alu instid0(VALU_DEP_2) | instskip(NEXT) | instid1(VALU_DEP_2)
	v_cvt_f64_f32_e32 v[12:13], v12
	v_and_or_b32 v4, 0xffe, v18, v4
	v_sub_nc_u32_e32 v18, 0x3f1, v22
	s_delay_alu instid0(VALU_DEP_2) | instskip(NEXT) | instid1(VALU_DEP_2)
	v_or_b32_e32 v26, 0x1000, v4
	v_med3_i32 v18, v18, 0, 13
	s_delay_alu instid0(VALU_DEP_1) | instskip(NEXT) | instid1(VALU_DEP_1)
	v_lshrrev_b32_e32 v20, v18, v26
	v_lshlrev_b32_e32 v18, v18, v20
	s_delay_alu instid0(VALU_DEP_1)
	v_cmp_ne_u32_e64 s0, v18, v26
	scratch_load_b32 v26, off, off th:TH_LOAD_LU ; 4-byte Folded Reload
	ds_load_b32 v18, v88 offset:5184
	s_wait_alu 0xf1ff
	v_cndmask_b32_e64 v11, 0, 1, s0
	v_cmp_eq_u32_e64 s0, 0x40f, v15
	v_add_nc_u32_e32 v15, 0xfffffc10, v22
	s_delay_alu instid0(VALU_DEP_3)
	v_or_b32_e32 v11, v20, v11
	v_mul_f16_e32 v20, v28, v9
	s_wait_alu 0xf1ff
	v_cndmask_b32_e64 v0, v8, v0, s0
	v_cmp_gt_i32_e64 s0, 1, v15
	v_mul_f64_e32 v[8:9], s[8:9], v[12:13]
	v_fma_f16 v13, v27, v14, -v20
	scratch_load_b32 v27, off, off offset:8 th:TH_LOAD_LU ; 4-byte Folded Reload
	v_lshl_or_b32 v12, v15, 12, v4
	v_bfe_u32 v14, v7, 20, 11
	v_and_or_b32 v20, 0x8000, v1, v0
	s_wait_alu 0xf1ff
	s_delay_alu instid0(VALU_DEP_3)
	v_cndmask_b32_e64 v11, v12, v11, s0
	v_cmp_ne_u32_e64 s0, 0, v6
	v_cvt_f32_f16_e32 v12, v13
	v_lshrrev_b32_e32 v13, 8, v7
	v_lshl_or_b32 v20, v20, 16, v10
	v_and_b32_e32 v21, 7, v11
	s_wait_alu 0xf1ff
	v_cndmask_b32_e64 v6, 0, 1, s0
	v_cvt_f64_f32_e32 v[0:1], v12
	v_sub_nc_u32_e32 v12, 0x3f1, v14
	v_lshrrev_b32_e32 v10, 2, v11
	v_cmp_lt_i32_e64 s0, 5, v21
	v_and_or_b32 v6, 0xffe, v13, v6
	s_wait_dscnt 0x0
	v_lshrrev_b32_e32 v13, 16, v18
	v_cmp_eq_u32_e64 s1, 3, v21
	v_med3_i32 v12, v12, 0, 13
	v_add_nc_u32_e32 v14, 0xfffffc10, v14
	v_or_b32_e32 v22, 0x1000, v6
	s_delay_alu instid0(VALU_DEP_4) | instskip(SKIP_2) | instid1(VALU_DEP_2)
	s_or_b32 s0, s1, s0
	s_wait_alu 0xfffe
	v_add_co_ci_u32_e64 v10, s0, 0, v10, s0
	v_lshrrev_b32_e32 v21, v12, v22
	v_cmp_ne_u32_e64 s0, 0, v4
	s_delay_alu instid0(VALU_DEP_2) | instskip(SKIP_1) | instid1(VALU_DEP_2)
	v_lshlrev_b32_e32 v12, v12, v21
	s_wait_alu 0xf1ff
	v_cndmask_b32_e64 v4, 0, 1, s0
	v_cmp_gt_i32_e64 s0, 31, v15
	v_and_or_b32 v8, 0x1ff, v9, v8
	s_delay_alu instid0(VALU_DEP_3) | instskip(SKIP_1) | instid1(VALU_DEP_1)
	v_lshl_or_b32 v4, v4, 9, 0x7c00
	v_mul_f64_e32 v[0:1], s[8:9], v[0:1]
	v_and_or_b32 v0, 0x1ff, v1, v0
	s_wait_loadcnt 0x0
	v_mul_f16_e32 v25, v27, v13
	s_delay_alu instid0(VALU_DEP_1) | instskip(SKIP_1) | instid1(VALU_DEP_2)
	v_fmac_f16_e32 v25, v26, v18
	v_mul_f16_e32 v18, v27, v18
	v_cvt_f32_f16_e32 v11, v25
	s_wait_alu 0xf1ff
	v_cndmask_b32_e64 v25, 0x7c00, v10, s0
	v_cmp_ne_u32_e64 s0, v12, v22
	v_lshrrev_b32_e32 v22, 8, v9
	v_fma_f16 v13, v26, v13, -v18
	v_cvt_f64_f32_e32 v[10:11], v11
	v_lshl_or_b32 v18, v14, 12, v6
	s_wait_alu 0xf1ff
	v_cndmask_b32_e64 v12, 0, 1, s0
	v_cmp_ne_u32_e64 s0, 0, v8
	v_cvt_f32_f16_e32 v13, v13
	s_delay_alu instid0(VALU_DEP_3) | instskip(SKIP_1) | instid1(VALU_DEP_3)
	v_or_b32_e32 v12, v21, v12
	s_wait_alu 0xf1ff
	v_cndmask_b32_e64 v8, 0, 1, s0
	v_bfe_u32 v21, v9, 20, 11
	v_cmp_gt_i32_e64 s0, 1, v14
	v_lshrrev_b32_e32 v9, 16, v9
	s_delay_alu instid0(VALU_DEP_4) | instskip(NEXT) | instid1(VALU_DEP_4)
	v_and_or_b32 v8, 0xffe, v22, v8
	v_sub_nc_u32_e32 v22, 0x3f1, v21
	s_wait_alu 0xf1ff
	v_cndmask_b32_e64 v18, v18, v12, s0
	v_cmp_eq_u32_e64 s0, 0x40f, v15
	v_cvt_f64_f32_e32 v[12:13], v13
	v_or_b32_e32 v26, 0x1000, v8
	v_med3_i32 v22, v22, 0, 13
	v_and_b32_e32 v27, 7, v18
	s_wait_alu 0xf1ff
	v_cndmask_b32_e64 v15, v25, v4, s0
	v_add_co_u32 v4, s0, v2, s6
	v_lshrrev_b32_e32 v28, v22, v26
	v_lshrrev_b32_e32 v25, 16, v5
	s_wait_alu 0xf1ff
	v_add_co_ci_u32_e64 v5, s0, s7, v3, s0
	v_cmp_lt_i32_e64 s0, 5, v27
	v_cmp_eq_u32_e64 s1, 3, v27
	v_lshrrev_b32_e32 v18, 2, v18
	v_lshlrev_b32_e32 v22, v22, v28
	v_add_nc_u32_e32 v21, 0xfffffc10, v21
	v_and_or_b32 v15, 0x8000, v25, v15
	s_or_b32 s0, s1, s0
	s_wait_alu 0xfffe
	v_add_co_ci_u32_e64 v18, s0, 0, v18, s0
	v_cmp_ne_u32_e64 s2, v22, v26
	v_cmp_ne_u32_e64 s0, 0, v6
	v_mul_f64_e32 v[10:11], s[8:9], v[10:11]
	v_lshl_or_b32 v25, v21, 12, v8
	v_lshrrev_b32_e32 v26, 8, v1
	s_wait_alu 0xf1ff
	v_cndmask_b32_e64 v22, 0, 1, s2
	v_cndmask_b32_e64 v6, 0, 1, s0
	v_cmp_gt_i32_e64 s0, 31, v14
	s_delay_alu instid0(VALU_DEP_3) | instskip(NEXT) | instid1(VALU_DEP_3)
	v_or_b32_e32 v22, v28, v22
	v_lshl_or_b32 v6, v6, 9, 0x7c00
	s_wait_alu 0xf1ff
	s_delay_alu instid0(VALU_DEP_3) | instskip(SKIP_2) | instid1(VALU_DEP_1)
	v_cndmask_b32_e64 v18, 0x7c00, v18, s0
	v_cmp_gt_i32_e64 s0, 1, v21
	s_wait_alu 0xf1ff
	v_cndmask_b32_e64 v22, v25, v22, s0
	v_cmp_eq_u32_e64 s0, 0x40f, v14
	s_delay_alu instid0(VALU_DEP_2) | instskip(SKIP_1) | instid1(VALU_DEP_2)
	v_and_b32_e32 v25, 7, v22
	s_wait_alu 0xf1ff
	v_cndmask_b32_e64 v14, v18, v6, s0
	v_lshrrev_b32_e32 v18, 16, v7
	v_cmp_ne_u32_e64 s0, 0, v0
	v_mul_f64_e32 v[6:7], s[8:9], v[12:13]
	v_bfe_u32 v12, v1, 20, 11
	v_cmp_eq_u32_e64 s1, 3, v25
	v_and_or_b32 v13, 0x8000, v18, v14
	v_and_b32_e32 v14, 0xffff, v15
	s_wait_alu 0xf1ff
	v_cndmask_b32_e64 v0, 0, 1, s0
	v_cmp_lt_i32_e64 s0, 5, v25
	v_sub_nc_u32_e32 v15, 0x3f1, v12
	v_add_nc_u32_e32 v12, 0xfffffc10, v12
	v_lshl_or_b32 v13, v13, 16, v14
	v_lshrrev_b32_e32 v14, 2, v22
	v_and_or_b32 v0, 0xffe, v26, v0
	s_or_b32 s0, s1, s0
	v_med3_i32 v15, v15, 0, 13
	v_and_or_b32 v10, 0x1ff, v11, v10
	s_wait_alu 0xfffe
	v_add_co_ci_u32_e64 v14, s0, 0, v14, s0
	v_or_b32_e32 v18, 0x1000, v0
	v_cmp_ne_u32_e64 s0, 0, v8
	v_lshrrev_b32_e32 v25, 8, v11
	v_bfe_u32 v26, v11, 20, 11
	v_lshrrev_b32_e32 v1, 16, v1
	v_lshrrev_b32_e32 v22, v15, v18
	s_wait_alu 0xf1ff
	v_cndmask_b32_e64 v8, 0, 1, s0
	v_cmp_gt_i32_e64 s0, 31, v21
	v_lshrrev_b32_e32 v11, 16, v11
	v_lshlrev_b32_e32 v15, v15, v22
	s_delay_alu instid0(VALU_DEP_4) | instskip(SKIP_4) | instid1(VALU_DEP_1)
	v_lshl_or_b32 v8, v8, 9, 0x7c00
	s_wait_alu 0xf1ff
	v_cndmask_b32_e64 v14, 0x7c00, v14, s0
	v_cmp_ne_u32_e64 s0, 0, v10
	s_wait_alu 0xf1ff
	v_cndmask_b32_e64 v10, 0, 1, s0
	v_cmp_ne_u32_e64 s0, v15, v18
	v_sub_nc_u32_e32 v18, 0x3f1, v26
	v_and_or_b32 v6, 0x1ff, v7, v6
	s_delay_alu instid0(VALU_DEP_4)
	v_and_or_b32 v10, 0xffe, v25, v10
	s_wait_alu 0xf1ff
	v_cndmask_b32_e64 v15, 0, 1, s0
	v_cmp_eq_u32_e64 s0, 0x40f, v21
	v_med3_i32 v18, v18, 0, 13
	v_bfe_u32 v25, v7, 20, 11
	v_or_b32_e32 v21, 0x1000, v10
	s_wait_alu 0xf1ff
	v_cndmask_b32_e64 v8, v14, v8, s0
	v_or_b32_e32 v14, v22, v15
	v_lshl_or_b32 v15, v12, 12, v0
	v_cmp_gt_i32_e64 s0, 1, v12
	v_lshrrev_b32_e32 v22, 8, v7
	v_and_or_b32 v8, 0x8000, v9, v8
	v_sub_nc_u32_e32 v9, 0x3f1, v25
	s_wait_alu 0xf1ff
	v_cndmask_b32_e64 v14, v15, v14, s0
	v_lshrrev_b32_e32 v15, v18, v21
	v_cmp_ne_u32_e64 s0, 0, v6
	v_med3_i32 v9, v9, 0, 13
	s_delay_alu instid0(VALU_DEP_4) | instskip(NEXT) | instid1(VALU_DEP_4)
	v_and_b32_e32 v27, 7, v14
	v_lshlrev_b32_e32 v18, v18, v15
	s_wait_alu 0xf1ff
	v_cndmask_b32_e64 v6, 0, 1, s0
	v_lshrrev_b32_e32 v14, 2, v14
	v_cmp_lt_i32_e64 s0, 5, v27
	v_cmp_ne_u32_e64 s1, v18, v21
	s_delay_alu instid0(VALU_DEP_4) | instskip(SKIP_2) | instid1(VALU_DEP_3)
	v_and_or_b32 v6, 0xffe, v22, v6
	v_add_nc_u32_e32 v22, 0xfffffc10, v26
	s_wait_alu 0xf1ff
	v_cndmask_b32_e64 v18, 0, 1, s1
	v_cmp_eq_u32_e64 s1, 3, v27
	v_or_b32_e32 v21, 0x1000, v6
	v_lshl_or_b32 v26, v22, 12, v10
	s_delay_alu instid0(VALU_DEP_4) | instskip(NEXT) | instid1(VALU_DEP_4)
	v_or_b32_e32 v15, v15, v18
	s_or_b32 s0, s1, s0
	s_delay_alu instid0(VALU_DEP_3) | instskip(SKIP_3) | instid1(VALU_DEP_3)
	v_lshrrev_b32_e32 v18, v9, v21
	s_wait_alu 0xfffe
	v_add_co_ci_u32_e64 v14, s0, 0, v14, s0
	v_cmp_gt_i32_e64 s0, 1, v22
	v_lshlrev_b32_e32 v9, v9, v18
	s_wait_alu 0xf1ff
	s_delay_alu instid0(VALU_DEP_2) | instskip(SKIP_2) | instid1(VALU_DEP_1)
	v_cndmask_b32_e64 v15, v26, v15, s0
	v_cmp_ne_u32_e64 s0, 0, v0
	s_wait_alu 0xf1ff
	v_cndmask_b32_e64 v0, 0, 1, s0
	v_cmp_ne_u32_e64 s0, v9, v21
	v_add_nc_u32_e32 v21, 0xfffffc10, v25
	v_and_b32_e32 v25, 7, v15
	s_delay_alu instid0(VALU_DEP_4)
	v_lshl_or_b32 v0, v0, 9, 0x7c00
	s_wait_alu 0xf1ff
	v_cndmask_b32_e64 v9, 0, 1, s0
	v_cmp_gt_i32_e64 s0, 31, v12
	v_cmp_gt_i32_e64 s2, 1, v21
	v_cmp_eq_u32_e64 s1, 3, v25
	s_delay_alu instid0(VALU_DEP_4) | instskip(SKIP_4) | instid1(VALU_DEP_3)
	v_or_b32_e32 v9, v18, v9
	v_lshl_or_b32 v18, v21, 12, v6
	s_wait_alu 0xf1ff
	v_cndmask_b32_e64 v14, 0x7c00, v14, s0
	v_cmp_lt_i32_e64 s0, 5, v25
	v_cndmask_b32_e64 v9, v18, v9, s2
	v_cmp_eq_u32_e64 s2, 0x40f, v12
	v_lshrrev_b32_e32 v12, 2, v15
	s_delay_alu instid0(VALU_DEP_4) | instskip(NEXT) | instid1(VALU_DEP_2)
	s_or_b32 s0, s1, s0
	v_cndmask_b32_e64 v0, v14, v0, s2
	s_wait_alu 0xfffe
	s_delay_alu instid0(VALU_DEP_2)
	v_add_co_ci_u32_e64 v12, s0, 0, v12, s0
	v_and_b32_e32 v14, 7, v9
	v_cmp_ne_u32_e64 s0, 0, v10
	v_lshrrev_b32_e32 v9, 2, v9
	v_cmp_gt_i32_e64 s2, 31, v22
	v_and_or_b32 v0, 0x8000, v1, v0
	v_cmp_eq_u32_e64 s1, 3, v14
	s_wait_alu 0xf1ff
	v_cndmask_b32_e64 v10, 0, 1, s0
	v_cmp_lt_i32_e64 s0, 5, v14
	v_cndmask_b32_e64 v12, 0x7c00, v12, s2
	v_and_b32_e32 v1, 0xffff, v8
	s_delay_alu instid0(VALU_DEP_4) | instskip(NEXT) | instid1(VALU_DEP_4)
	v_lshl_or_b32 v10, v10, 9, 0x7c00
	s_or_b32 s0, s1, s0
	s_wait_alu 0xfffe
	v_add_co_ci_u32_e64 v9, s0, 0, v9, s0
	v_cmp_ne_u32_e64 s0, 0, v6
	s_wait_alu 0xf1ff
	s_delay_alu instid0(VALU_DEP_1) | instskip(SKIP_1) | instid1(VALU_DEP_2)
	v_cndmask_b32_e64 v6, 0, 1, s0
	v_cmp_eq_u32_e64 s0, 0x40f, v22
	v_lshl_or_b32 v6, v6, 9, 0x7c00
	s_wait_alu 0xf1ff
	s_delay_alu instid0(VALU_DEP_2) | instskip(SKIP_1) | instid1(VALU_DEP_2)
	v_cndmask_b32_e64 v10, v12, v10, s0
	v_cmp_gt_i32_e64 s0, 31, v21
	v_and_or_b32 v8, 0x8000, v11, v10
	s_wait_alu 0xf1ff
	s_delay_alu instid0(VALU_DEP_2)
	v_cndmask_b32_e64 v9, 0x7c00, v9, s0
	v_cmp_eq_u32_e64 s0, 0x40f, v21
	v_lshrrev_b32_e32 v10, 16, v7
	v_lshl_or_b32 v11, v0, 16, v1
	v_and_b32_e32 v1, 0xffff, v8
	s_wait_alu 0xf1ff
	v_cndmask_b32_e64 v9, v9, v6, s0
	v_add_co_u32 v6, s0, v4, s6
	s_wait_alu 0xf1ff
	v_add_co_ci_u32_e64 v7, s0, s7, v5, s0
	s_delay_alu instid0(VALU_DEP_3) | instskip(NEXT) | instid1(VALU_DEP_3)
	v_and_or_b32 v0, 0x8000, v10, v9
	v_add_co_u32 v8, s0, v6, s6
	s_wait_alu 0xf1ff
	s_delay_alu instid0(VALU_DEP_3) | instskip(NEXT) | instid1(VALU_DEP_3)
	v_add_co_ci_u32_e64 v9, s0, s7, v7, s0
	v_lshl_or_b32 v10, v0, 16, v1
	s_delay_alu instid0(VALU_DEP_3) | instskip(SKIP_1) | instid1(VALU_DEP_3)
	v_add_co_u32 v0, s0, v8, s6
	s_wait_alu 0xf1ff
	v_add_co_ci_u32_e64 v1, s0, s7, v9, s0
	global_store_b32 v[2:3], v19, off
	global_store_b32 v[4:5], v20, off
	;; [unrolled: 1-line block ×5, first 2 shown]
	s_and_b32 exec_lo, exec_lo, vcc_lo
	s_cbranch_execz .LBB0_15
; %bb.14:
	global_load_b32 v4, v[16:17], off offset:204
	ds_load_2addr_b32 v[2:3], v88 offset0:51 offset1:132
	v_mad_co_u64_u32 v[0:1], null, 0xffffec8c, s4, v[0:1]
	s_wait_dscnt 0x0
	v_lshrrev_b32_e32 v5, 16, v2
	s_wait_loadcnt 0x0
	v_lshrrev_b32_e32 v6, 16, v4
	s_delay_alu instid0(VALU_DEP_1) | instskip(SKIP_1) | instid1(VALU_DEP_2)
	v_mul_f16_e32 v7, v5, v6
	v_mul_f16_e32 v6, v2, v6
	v_fmac_f16_e32 v7, v2, v4
	s_delay_alu instid0(VALU_DEP_2) | instskip(NEXT) | instid1(VALU_DEP_2)
	v_fma_f16 v2, v4, v5, -v6
	v_cvt_f32_f16_e32 v4, v7
	s_delay_alu instid0(VALU_DEP_2) | instskip(NEXT) | instid1(VALU_DEP_2)
	v_cvt_f32_f16_e32 v2, v2
	v_cvt_f64_f32_e32 v[4:5], v4
	s_delay_alu instid0(VALU_DEP_2) | instskip(NEXT) | instid1(VALU_DEP_2)
	v_cvt_f64_f32_e32 v[6:7], v2
	v_mul_f64_e32 v[4:5], s[8:9], v[4:5]
	s_delay_alu instid0(VALU_DEP_2) | instskip(NEXT) | instid1(VALU_DEP_2)
	v_mul_f64_e32 v[6:7], s[8:9], v[6:7]
	v_and_or_b32 v2, 0x1ff, v5, v4
	s_delay_alu instid0(VALU_DEP_2)
	v_and_or_b32 v6, 0x1ff, v7, v6
	v_lshrrev_b32_e32 v4, 8, v5
	v_bfe_u32 v8, v5, 20, 11
	v_lshrrev_b32_e32 v9, 8, v7
	v_cmp_ne_u32_e32 vcc_lo, 0, v2
	v_bfe_u32 v10, v7, 20, 11
	v_lshrrev_b32_e32 v5, 16, v5
	v_sub_nc_u32_e32 v11, 0x3f1, v8
	v_add_nc_u32_e32 v8, 0xfffffc10, v8
	s_wait_alu 0xfffd
	v_cndmask_b32_e64 v2, 0, 1, vcc_lo
	v_cmp_ne_u32_e32 vcc_lo, 0, v6
	v_lshrrev_b32_e32 v7, 16, v7
	s_delay_alu instid0(VALU_DEP_3) | instskip(SKIP_4) | instid1(VALU_DEP_3)
	v_and_or_b32 v2, 0xffe, v4, v2
	s_wait_alu 0xfffd
	v_cndmask_b32_e64 v6, 0, 1, vcc_lo
	v_sub_nc_u32_e32 v4, 0x3f1, v10
	v_add_nc_u32_e32 v10, 0xfffffc10, v10
	v_and_or_b32 v6, 0xffe, v9, v6
	v_med3_i32 v9, v11, 0, 13
	v_or_b32_e32 v11, 0x1000, v2
	v_med3_i32 v4, v4, 0, 13
	s_delay_alu instid0(VALU_DEP_4) | instskip(NEXT) | instid1(VALU_DEP_3)
	v_or_b32_e32 v12, 0x1000, v6
	v_lshrrev_b32_e32 v13, v9, v11
	s_delay_alu instid0(VALU_DEP_2) | instskip(NEXT) | instid1(VALU_DEP_2)
	v_lshrrev_b32_e32 v14, v4, v12
	v_lshlrev_b32_e32 v9, v9, v13
	s_delay_alu instid0(VALU_DEP_1) | instskip(SKIP_3) | instid1(VALU_DEP_1)
	v_cmp_ne_u32_e32 vcc_lo, v9, v11
	v_lshl_or_b32 v11, v8, 12, v2
	s_wait_alu 0xfffd
	v_cndmask_b32_e64 v9, 0, 1, vcc_lo
	v_or_b32_e32 v9, v13, v9
	v_lshlrev_b32_e32 v4, v4, v14
	s_delay_alu instid0(VALU_DEP_1) | instskip(SKIP_4) | instid1(VALU_DEP_2)
	v_cmp_ne_u32_e32 vcc_lo, v4, v12
	v_lshl_or_b32 v12, v10, 12, v6
	s_wait_alu 0xfffd
	v_cndmask_b32_e64 v4, 0, 1, vcc_lo
	v_cmp_gt_i32_e32 vcc_lo, 1, v8
	v_or_b32_e32 v4, v14, v4
	s_wait_alu 0xfffd
	v_cndmask_b32_e32 v9, v11, v9, vcc_lo
	v_cmp_gt_i32_e32 vcc_lo, 1, v10
	s_wait_alu 0xfffd
	s_delay_alu instid0(VALU_DEP_2) | instskip(SKIP_2) | instid1(VALU_DEP_3)
	v_dual_cndmask_b32 v4, v12, v4 :: v_dual_and_b32 v11, 7, v9
	v_cmp_ne_u32_e32 vcc_lo, 0, v2
	v_lshrrev_b32_e32 v9, 2, v9
	v_cmp_eq_u32_e64 s0, 3, v11
	s_wait_alu 0xfffd
	v_cndmask_b32_e64 v2, 0, 1, vcc_lo
	v_cmp_ne_u32_e32 vcc_lo, 0, v6
	s_delay_alu instid0(VALU_DEP_2) | instskip(SKIP_3) | instid1(VALU_DEP_2)
	v_lshl_or_b32 v2, v2, 9, 0x7c00
	s_wait_alu 0xfffd
	v_cndmask_b32_e64 v6, 0, 1, vcc_lo
	v_cmp_lt_i32_e32 vcc_lo, 5, v11
	v_lshl_or_b32 v6, v6, 9, 0x7c00
	s_or_b32 vcc_lo, s0, vcc_lo
	s_mul_i32 s0, s5, 0xffffec8c
	s_wait_alu 0xfffe
	v_add_co_ci_u32_e32 v9, vcc_lo, 0, v9, vcc_lo
	v_and_b32_e32 v12, 7, v4
	v_lshrrev_b32_e32 v4, 2, v4
	s_sub_co_i32 s0, s0, s4
	s_wait_alu 0xfffe
	v_add_nc_u32_e32 v1, s0, v1
	v_cmp_lt_i32_e64 s1, 5, v12
	v_cmp_eq_u32_e64 s2, 3, v12
	s_delay_alu instid0(VALU_DEP_1)
	s_or_b32 vcc_lo, s2, s1
	s_wait_alu 0xfffe
	v_add_co_ci_u32_e32 v4, vcc_lo, 0, v4, vcc_lo
	v_cmp_gt_i32_e32 vcc_lo, 31, v8
	s_wait_alu 0xfffd
	v_cndmask_b32_e32 v9, 0x7c00, v9, vcc_lo
	v_cmp_gt_i32_e32 vcc_lo, 31, v10
	s_wait_alu 0xfffd
	v_cndmask_b32_e32 v4, 0x7c00, v4, vcc_lo
	v_cmp_eq_u32_e32 vcc_lo, 0x40f, v8
	s_wait_alu 0xfffd
	v_cndmask_b32_e32 v2, v9, v2, vcc_lo
	v_cmp_eq_u32_e32 vcc_lo, 0x40f, v10
	s_delay_alu instid0(VALU_DEP_2) | instskip(SKIP_2) | instid1(VALU_DEP_2)
	v_and_or_b32 v2, 0x8000, v5, v2
	s_wait_alu 0xfffd
	v_cndmask_b32_e32 v4, v4, v6, vcc_lo
	v_and_b32_e32 v2, 0xffff, v2
	s_delay_alu instid0(VALU_DEP_2) | instskip(NEXT) | instid1(VALU_DEP_1)
	v_and_or_b32 v4, 0x8000, v7, v4
	v_lshl_or_b32 v2, v4, 16, v2
	v_lshrrev_b32_e32 v4, 16, v3
	global_store_b32 v[0:1], v2, off
	global_load_b32 v2, v[16:17], off offset:528
	s_wait_loadcnt 0x0
	v_lshrrev_b32_e32 v5, 16, v2
	s_delay_alu instid0(VALU_DEP_1) | instskip(SKIP_1) | instid1(VALU_DEP_2)
	v_mul_f16_e32 v6, v4, v5
	v_mul_f16_e32 v5, v3, v5
	v_fmac_f16_e32 v6, v3, v2
	s_delay_alu instid0(VALU_DEP_2) | instskip(NEXT) | instid1(VALU_DEP_2)
	v_fma_f16 v2, v2, v4, -v5
	v_cvt_f32_f16_e32 v3, v6
	s_delay_alu instid0(VALU_DEP_2) | instskip(NEXT) | instid1(VALU_DEP_2)
	v_cvt_f32_f16_e32 v4, v2
	v_cvt_f64_f32_e32 v[2:3], v3
	s_delay_alu instid0(VALU_DEP_2) | instskip(NEXT) | instid1(VALU_DEP_2)
	v_cvt_f64_f32_e32 v[4:5], v4
	v_mul_f64_e32 v[2:3], s[8:9], v[2:3]
	s_delay_alu instid0(VALU_DEP_2) | instskip(NEXT) | instid1(VALU_DEP_2)
	v_mul_f64_e32 v[4:5], s[8:9], v[4:5]
	v_and_or_b32 v2, 0x1ff, v3, v2
	s_delay_alu instid0(VALU_DEP_2)
	v_and_or_b32 v4, 0x1ff, v5, v4
	v_lshrrev_b32_e32 v6, 8, v3
	v_bfe_u32 v7, v3, 20, 11
	v_lshrrev_b32_e32 v8, 8, v5
	v_cmp_ne_u32_e32 vcc_lo, 0, v2
	v_bfe_u32 v9, v5, 20, 11
	v_lshrrev_b32_e32 v3, 16, v3
	v_sub_nc_u32_e32 v10, 0x3f1, v7
	v_add_nc_u32_e32 v7, 0xfffffc10, v7
	s_wait_alu 0xfffd
	v_cndmask_b32_e64 v2, 0, 1, vcc_lo
	v_cmp_ne_u32_e32 vcc_lo, 0, v4
	v_lshrrev_b32_e32 v5, 16, v5
	s_delay_alu instid0(VALU_DEP_3) | instskip(SKIP_3) | instid1(VALU_DEP_2)
	v_and_or_b32 v2, 0xffe, v6, v2
	s_wait_alu 0xfffd
	v_cndmask_b32_e64 v4, 0, 1, vcc_lo
	v_sub_nc_u32_e32 v6, 0x3f1, v9
	v_and_or_b32 v4, 0xffe, v8, v4
	v_med3_i32 v8, v10, 0, 13
	v_or_b32_e32 v10, 0x1000, v2
	s_delay_alu instid0(VALU_DEP_4) | instskip(NEXT) | instid1(VALU_DEP_4)
	v_med3_i32 v6, v6, 0, 13
	v_or_b32_e32 v11, 0x1000, v4
	s_delay_alu instid0(VALU_DEP_3) | instskip(NEXT) | instid1(VALU_DEP_2)
	v_lshrrev_b32_e32 v12, v8, v10
	v_lshrrev_b32_e32 v13, v6, v11
	s_delay_alu instid0(VALU_DEP_2) | instskip(NEXT) | instid1(VALU_DEP_2)
	v_lshlrev_b32_e32 v8, v8, v12
	v_lshlrev_b32_e32 v6, v6, v13
	s_delay_alu instid0(VALU_DEP_2) | instskip(SKIP_4) | instid1(VALU_DEP_2)
	v_cmp_ne_u32_e32 vcc_lo, v8, v10
	v_lshl_or_b32 v10, v7, 12, v2
	s_wait_alu 0xfffd
	v_cndmask_b32_e64 v8, 0, 1, vcc_lo
	v_cmp_ne_u32_e32 vcc_lo, v6, v11
	v_or_b32_e32 v8, v12, v8
	s_wait_alu 0xfffd
	v_cndmask_b32_e64 v6, 0, 1, vcc_lo
	v_cmp_gt_i32_e32 vcc_lo, 1, v7
	v_add_nc_u32_e32 v9, 0xfffffc10, v9
	s_delay_alu instid0(VALU_DEP_3) | instskip(SKIP_2) | instid1(VALU_DEP_3)
	v_or_b32_e32 v6, v13, v6
	s_wait_alu 0xfffd
	v_cndmask_b32_e32 v8, v10, v8, vcc_lo
	v_lshl_or_b32 v11, v9, 12, v4
	v_cmp_gt_i32_e32 vcc_lo, 1, v9
	s_delay_alu instid0(VALU_DEP_3)
	v_and_b32_e32 v10, 7, v8
	v_lshrrev_b32_e32 v8, 2, v8
	s_wait_alu 0xfffd
	v_cndmask_b32_e32 v6, v11, v6, vcc_lo
	v_cmp_ne_u32_e32 vcc_lo, 0, v2
	v_cmp_eq_u32_e64 s0, 3, v10
	s_wait_alu 0xfffd
	v_cndmask_b32_e64 v2, 0, 1, vcc_lo
	v_cmp_ne_u32_e32 vcc_lo, 0, v4
	s_delay_alu instid0(VALU_DEP_2) | instskip(SKIP_3) | instid1(VALU_DEP_2)
	v_lshl_or_b32 v2, v2, 9, 0x7c00
	s_wait_alu 0xfffd
	v_cndmask_b32_e64 v4, 0, 1, vcc_lo
	v_cmp_lt_i32_e32 vcc_lo, 5, v10
	v_lshl_or_b32 v4, v4, 9, 0x7c00
	s_or_b32 vcc_lo, s0, vcc_lo
	s_wait_alu 0xfffe
	v_add_co_ci_u32_e32 v8, vcc_lo, 0, v8, vcc_lo
	v_and_b32_e32 v11, 7, v6
	v_lshrrev_b32_e32 v6, 2, v6
	s_delay_alu instid0(VALU_DEP_2) | instskip(SKIP_1) | instid1(VALU_DEP_1)
	v_cmp_lt_i32_e64 s1, 5, v11
	v_cmp_eq_u32_e64 s2, 3, v11
	s_or_b32 vcc_lo, s2, s1
	s_wait_alu 0xfffe
	v_add_co_ci_u32_e32 v6, vcc_lo, 0, v6, vcc_lo
	v_cmp_gt_i32_e32 vcc_lo, 31, v7
	s_wait_alu 0xfffd
	v_cndmask_b32_e32 v8, 0x7c00, v8, vcc_lo
	v_cmp_gt_i32_e32 vcc_lo, 31, v9
	s_wait_alu 0xfffd
	v_cndmask_b32_e32 v6, 0x7c00, v6, vcc_lo
	v_cmp_eq_u32_e32 vcc_lo, 0x40f, v7
	s_wait_alu 0xfffd
	v_cndmask_b32_e32 v2, v8, v2, vcc_lo
	v_cmp_eq_u32_e32 vcc_lo, 0x40f, v9
	s_delay_alu instid0(VALU_DEP_2)
	v_and_or_b32 v2, 0x8000, v3, v2
	s_wait_alu 0xfffd
	v_cndmask_b32_e32 v4, v6, v4, vcc_lo
	v_add_co_u32 v0, vcc_lo, v0, s6
	s_wait_alu 0xfffd
	v_add_co_ci_u32_e32 v1, vcc_lo, s7, v1, vcc_lo
	s_delay_alu instid0(VALU_DEP_3) | instskip(SKIP_1) | instid1(VALU_DEP_1)
	v_and_or_b32 v3, 0x8000, v5, v4
	v_and_b32_e32 v2, 0xffff, v2
	v_lshl_or_b32 v2, v3, 16, v2
	global_store_b32 v[0:1], v2, off
	global_load_b32 v4, v[16:17], off offset:852
	v_add_nc_u32_e32 v2, 0x200, v88
	ds_load_2addr_b32 v[2:3], v2 offset0:85 offset1:166
	s_wait_dscnt 0x0
	v_lshrrev_b32_e32 v5, 16, v2
	s_wait_loadcnt 0x0
	v_lshrrev_b32_e32 v6, 16, v4
	s_delay_alu instid0(VALU_DEP_1) | instskip(SKIP_1) | instid1(VALU_DEP_2)
	v_mul_f16_e32 v7, v5, v6
	v_mul_f16_e32 v6, v2, v6
	v_fmac_f16_e32 v7, v2, v4
	s_delay_alu instid0(VALU_DEP_2) | instskip(NEXT) | instid1(VALU_DEP_2)
	v_fma_f16 v2, v4, v5, -v6
	v_cvt_f32_f16_e32 v4, v7
	s_delay_alu instid0(VALU_DEP_2) | instskip(NEXT) | instid1(VALU_DEP_2)
	v_cvt_f32_f16_e32 v2, v2
	v_cvt_f64_f32_e32 v[4:5], v4
	s_delay_alu instid0(VALU_DEP_2) | instskip(NEXT) | instid1(VALU_DEP_2)
	v_cvt_f64_f32_e32 v[6:7], v2
	v_mul_f64_e32 v[4:5], s[8:9], v[4:5]
	s_delay_alu instid0(VALU_DEP_2) | instskip(NEXT) | instid1(VALU_DEP_2)
	v_mul_f64_e32 v[6:7], s[8:9], v[6:7]
	v_and_or_b32 v2, 0x1ff, v5, v4
	s_delay_alu instid0(VALU_DEP_2)
	v_and_or_b32 v6, 0x1ff, v7, v6
	v_lshrrev_b32_e32 v4, 8, v5
	v_bfe_u32 v8, v5, 20, 11
	v_lshrrev_b32_e32 v9, 8, v7
	v_cmp_ne_u32_e32 vcc_lo, 0, v2
	v_bfe_u32 v10, v7, 20, 11
	v_lshrrev_b32_e32 v5, 16, v5
	v_sub_nc_u32_e32 v11, 0x3f1, v8
	v_add_nc_u32_e32 v8, 0xfffffc10, v8
	s_wait_alu 0xfffd
	v_cndmask_b32_e64 v2, 0, 1, vcc_lo
	v_cmp_ne_u32_e32 vcc_lo, 0, v6
	v_lshrrev_b32_e32 v7, 16, v7
	s_delay_alu instid0(VALU_DEP_3) | instskip(SKIP_4) | instid1(VALU_DEP_3)
	v_and_or_b32 v2, 0xffe, v4, v2
	s_wait_alu 0xfffd
	v_cndmask_b32_e64 v6, 0, 1, vcc_lo
	v_sub_nc_u32_e32 v4, 0x3f1, v10
	v_add_nc_u32_e32 v10, 0xfffffc10, v10
	v_and_or_b32 v6, 0xffe, v9, v6
	v_med3_i32 v9, v11, 0, 13
	v_or_b32_e32 v11, 0x1000, v2
	v_med3_i32 v4, v4, 0, 13
	s_delay_alu instid0(VALU_DEP_4) | instskip(NEXT) | instid1(VALU_DEP_3)
	v_or_b32_e32 v12, 0x1000, v6
	v_lshrrev_b32_e32 v13, v9, v11
	s_delay_alu instid0(VALU_DEP_2) | instskip(NEXT) | instid1(VALU_DEP_2)
	v_lshrrev_b32_e32 v14, v4, v12
	v_lshlrev_b32_e32 v9, v9, v13
	s_delay_alu instid0(VALU_DEP_2) | instskip(NEXT) | instid1(VALU_DEP_2)
	v_lshlrev_b32_e32 v4, v4, v14
	v_cmp_ne_u32_e32 vcc_lo, v9, v11
	v_lshl_or_b32 v11, v8, 12, v2
	s_wait_alu 0xfffd
	v_cndmask_b32_e64 v9, 0, 1, vcc_lo
	v_cmp_ne_u32_e32 vcc_lo, v4, v12
	v_lshl_or_b32 v12, v10, 12, v6
	s_delay_alu instid0(VALU_DEP_3) | instskip(SKIP_3) | instid1(VALU_DEP_2)
	v_or_b32_e32 v9, v13, v9
	s_wait_alu 0xfffd
	v_cndmask_b32_e64 v4, 0, 1, vcc_lo
	v_cmp_gt_i32_e32 vcc_lo, 1, v8
	v_or_b32_e32 v4, v14, v4
	s_wait_alu 0xfffd
	v_cndmask_b32_e32 v9, v11, v9, vcc_lo
	v_cmp_gt_i32_e32 vcc_lo, 1, v10
	s_wait_alu 0xfffd
	s_delay_alu instid0(VALU_DEP_2) | instskip(SKIP_2) | instid1(VALU_DEP_3)
	v_dual_cndmask_b32 v4, v12, v4 :: v_dual_and_b32 v11, 7, v9
	v_cmp_ne_u32_e32 vcc_lo, 0, v2
	v_lshrrev_b32_e32 v9, 2, v9
	v_cmp_eq_u32_e64 s0, 3, v11
	s_delay_alu instid0(VALU_DEP_4)
	v_and_b32_e32 v12, 7, v4
	s_wait_alu 0xfffd
	v_cndmask_b32_e64 v2, 0, 1, vcc_lo
	v_cmp_ne_u32_e32 vcc_lo, 0, v6
	v_lshrrev_b32_e32 v4, 2, v4
	v_cmp_lt_i32_e64 s1, 5, v12
	v_cmp_eq_u32_e64 s2, 3, v12
	s_wait_alu 0xfffd
	v_cndmask_b32_e64 v6, 0, 1, vcc_lo
	v_cmp_lt_i32_e32 vcc_lo, 5, v11
	v_lshl_or_b32 v2, v2, 9, 0x7c00
	s_delay_alu instid0(VALU_DEP_3)
	v_lshl_or_b32 v6, v6, 9, 0x7c00
	s_or_b32 vcc_lo, s0, vcc_lo
	s_wait_alu 0xfffe
	v_add_co_ci_u32_e32 v9, vcc_lo, 0, v9, vcc_lo
	s_or_b32 vcc_lo, s2, s1
	s_wait_alu 0xfffe
	v_add_co_ci_u32_e32 v4, vcc_lo, 0, v4, vcc_lo
	v_cmp_gt_i32_e32 vcc_lo, 31, v8
	s_wait_alu 0xfffd
	v_cndmask_b32_e32 v9, 0x7c00, v9, vcc_lo
	v_cmp_gt_i32_e32 vcc_lo, 31, v10
	s_wait_alu 0xfffd
	v_cndmask_b32_e32 v4, 0x7c00, v4, vcc_lo
	v_cmp_eq_u32_e32 vcc_lo, 0x40f, v8
	s_wait_alu 0xfffd
	v_cndmask_b32_e32 v2, v9, v2, vcc_lo
	v_cmp_eq_u32_e32 vcc_lo, 0x40f, v10
	s_delay_alu instid0(VALU_DEP_2)
	v_and_or_b32 v2, 0x8000, v5, v2
	s_wait_alu 0xfffd
	v_cndmask_b32_e32 v4, v4, v6, vcc_lo
	v_add_co_u32 v0, vcc_lo, v0, s6
	s_wait_alu 0xfffd
	v_add_co_ci_u32_e32 v1, vcc_lo, s7, v1, vcc_lo
	s_delay_alu instid0(VALU_DEP_3) | instskip(SKIP_1) | instid1(VALU_DEP_1)
	v_and_or_b32 v4, 0x8000, v7, v4
	v_and_b32_e32 v2, 0xffff, v2
	v_lshl_or_b32 v2, v4, 16, v2
	v_lshrrev_b32_e32 v4, 16, v3
	global_store_b32 v[0:1], v2, off
	global_load_b32 v2, v[16:17], off offset:1176
	s_wait_loadcnt 0x0
	v_lshrrev_b32_e32 v5, 16, v2
	s_delay_alu instid0(VALU_DEP_1) | instskip(SKIP_1) | instid1(VALU_DEP_2)
	v_mul_f16_e32 v6, v4, v5
	v_mul_f16_e32 v5, v3, v5
	v_fmac_f16_e32 v6, v3, v2
	s_delay_alu instid0(VALU_DEP_2) | instskip(NEXT) | instid1(VALU_DEP_2)
	v_fma_f16 v2, v2, v4, -v5
	v_cvt_f32_f16_e32 v3, v6
	s_delay_alu instid0(VALU_DEP_2) | instskip(NEXT) | instid1(VALU_DEP_2)
	v_cvt_f32_f16_e32 v4, v2
	v_cvt_f64_f32_e32 v[2:3], v3
	s_delay_alu instid0(VALU_DEP_2) | instskip(NEXT) | instid1(VALU_DEP_2)
	v_cvt_f64_f32_e32 v[4:5], v4
	v_mul_f64_e32 v[2:3], s[8:9], v[2:3]
	s_delay_alu instid0(VALU_DEP_2) | instskip(NEXT) | instid1(VALU_DEP_2)
	v_mul_f64_e32 v[4:5], s[8:9], v[4:5]
	v_and_or_b32 v2, 0x1ff, v3, v2
	s_delay_alu instid0(VALU_DEP_2)
	v_and_or_b32 v4, 0x1ff, v5, v4
	v_lshrrev_b32_e32 v6, 8, v3
	v_bfe_u32 v7, v3, 20, 11
	v_lshrrev_b32_e32 v8, 8, v5
	v_cmp_ne_u32_e32 vcc_lo, 0, v2
	v_bfe_u32 v9, v5, 20, 11
	v_lshrrev_b32_e32 v3, 16, v3
	v_sub_nc_u32_e32 v10, 0x3f1, v7
	v_add_nc_u32_e32 v7, 0xfffffc10, v7
	s_wait_alu 0xfffd
	v_cndmask_b32_e64 v2, 0, 1, vcc_lo
	v_cmp_ne_u32_e32 vcc_lo, 0, v4
	v_lshrrev_b32_e32 v5, 16, v5
	s_delay_alu instid0(VALU_DEP_3) | instskip(SKIP_4) | instid1(VALU_DEP_3)
	v_and_or_b32 v2, 0xffe, v6, v2
	s_wait_alu 0xfffd
	v_cndmask_b32_e64 v4, 0, 1, vcc_lo
	v_sub_nc_u32_e32 v6, 0x3f1, v9
	v_add_nc_u32_e32 v9, 0xfffffc10, v9
	v_and_or_b32 v4, 0xffe, v8, v4
	v_med3_i32 v8, v10, 0, 13
	v_or_b32_e32 v10, 0x1000, v2
	v_med3_i32 v6, v6, 0, 13
	s_delay_alu instid0(VALU_DEP_4) | instskip(NEXT) | instid1(VALU_DEP_3)
	v_or_b32_e32 v11, 0x1000, v4
	v_lshrrev_b32_e32 v12, v8, v10
	s_delay_alu instid0(VALU_DEP_2) | instskip(NEXT) | instid1(VALU_DEP_2)
	v_lshrrev_b32_e32 v13, v6, v11
	v_lshlrev_b32_e32 v8, v8, v12
	s_delay_alu instid0(VALU_DEP_2) | instskip(NEXT) | instid1(VALU_DEP_2)
	v_lshlrev_b32_e32 v6, v6, v13
	v_cmp_ne_u32_e32 vcc_lo, v8, v10
	v_lshl_or_b32 v10, v7, 12, v2
	s_wait_alu 0xfffd
	v_cndmask_b32_e64 v8, 0, 1, vcc_lo
	v_cmp_ne_u32_e32 vcc_lo, v6, v11
	v_lshl_or_b32 v11, v9, 12, v4
	s_delay_alu instid0(VALU_DEP_3) | instskip(SKIP_3) | instid1(VALU_DEP_2)
	v_or_b32_e32 v8, v12, v8
	s_wait_alu 0xfffd
	v_cndmask_b32_e64 v6, 0, 1, vcc_lo
	v_cmp_gt_i32_e32 vcc_lo, 1, v7
	v_or_b32_e32 v6, v13, v6
	s_wait_alu 0xfffd
	v_cndmask_b32_e32 v8, v10, v8, vcc_lo
	v_cmp_gt_i32_e32 vcc_lo, 1, v9
	s_delay_alu instid0(VALU_DEP_2)
	v_and_b32_e32 v10, 7, v8
	s_wait_alu 0xfffd
	v_cndmask_b32_e32 v6, v11, v6, vcc_lo
	v_cmp_ne_u32_e32 vcc_lo, 0, v2
	v_lshrrev_b32_e32 v8, 2, v8
	v_cmp_eq_u32_e64 s0, 3, v10
	s_delay_alu instid0(VALU_DEP_4)
	v_and_b32_e32 v11, 7, v6
	s_wait_alu 0xfffd
	v_cndmask_b32_e64 v2, 0, 1, vcc_lo
	v_cmp_ne_u32_e32 vcc_lo, 0, v4
	v_lshrrev_b32_e32 v6, 2, v6
	v_cmp_lt_i32_e64 s1, 5, v11
	v_cmp_eq_u32_e64 s2, 3, v11
	s_wait_alu 0xfffd
	v_cndmask_b32_e64 v4, 0, 1, vcc_lo
	v_cmp_lt_i32_e32 vcc_lo, 5, v10
	v_lshl_or_b32 v2, v2, 9, 0x7c00
	s_delay_alu instid0(VALU_DEP_3)
	v_lshl_or_b32 v4, v4, 9, 0x7c00
	s_or_b32 vcc_lo, s0, vcc_lo
	s_wait_alu 0xfffe
	v_add_co_ci_u32_e32 v8, vcc_lo, 0, v8, vcc_lo
	s_or_b32 vcc_lo, s2, s1
	s_wait_alu 0xfffe
	v_add_co_ci_u32_e32 v6, vcc_lo, 0, v6, vcc_lo
	v_cmp_gt_i32_e32 vcc_lo, 31, v7
	s_wait_alu 0xfffd
	v_cndmask_b32_e32 v8, 0x7c00, v8, vcc_lo
	v_cmp_gt_i32_e32 vcc_lo, 31, v9
	s_wait_alu 0xfffd
	v_cndmask_b32_e32 v6, 0x7c00, v6, vcc_lo
	v_cmp_eq_u32_e32 vcc_lo, 0x40f, v7
	s_wait_alu 0xfffd
	v_cndmask_b32_e32 v2, v8, v2, vcc_lo
	v_cmp_eq_u32_e32 vcc_lo, 0x40f, v9
	s_delay_alu instid0(VALU_DEP_2)
	v_and_or_b32 v2, 0x8000, v3, v2
	s_wait_alu 0xfffd
	v_cndmask_b32_e32 v4, v6, v4, vcc_lo
	v_add_co_u32 v0, vcc_lo, v0, s6
	s_wait_alu 0xfffd
	v_add_co_ci_u32_e32 v1, vcc_lo, s7, v1, vcc_lo
	s_delay_alu instid0(VALU_DEP_3) | instskip(SKIP_1) | instid1(VALU_DEP_1)
	v_and_or_b32 v3, 0x8000, v5, v4
	v_and_b32_e32 v2, 0xffff, v2
	v_lshl_or_b32 v2, v3, 16, v2
	global_store_b32 v[0:1], v2, off
	global_load_b32 v4, v[16:17], off offset:1500
	ds_load_2addr_b32 v[2:3], v63 offset0:119 offset1:200
	s_wait_dscnt 0x0
	v_lshrrev_b32_e32 v5, 16, v2
	s_wait_loadcnt 0x0
	v_lshrrev_b32_e32 v6, 16, v4
	s_delay_alu instid0(VALU_DEP_1) | instskip(SKIP_1) | instid1(VALU_DEP_2)
	v_mul_f16_e32 v7, v5, v6
	v_mul_f16_e32 v6, v2, v6
	v_fmac_f16_e32 v7, v2, v4
	s_delay_alu instid0(VALU_DEP_2) | instskip(NEXT) | instid1(VALU_DEP_2)
	v_fma_f16 v2, v4, v5, -v6
	v_cvt_f32_f16_e32 v4, v7
	s_delay_alu instid0(VALU_DEP_2) | instskip(NEXT) | instid1(VALU_DEP_2)
	v_cvt_f32_f16_e32 v2, v2
	v_cvt_f64_f32_e32 v[4:5], v4
	s_delay_alu instid0(VALU_DEP_2) | instskip(NEXT) | instid1(VALU_DEP_2)
	v_cvt_f64_f32_e32 v[6:7], v2
	v_mul_f64_e32 v[4:5], s[8:9], v[4:5]
	s_delay_alu instid0(VALU_DEP_2) | instskip(NEXT) | instid1(VALU_DEP_2)
	v_mul_f64_e32 v[6:7], s[8:9], v[6:7]
	v_and_or_b32 v2, 0x1ff, v5, v4
	s_delay_alu instid0(VALU_DEP_2)
	v_and_or_b32 v6, 0x1ff, v7, v6
	v_lshrrev_b32_e32 v4, 8, v5
	v_bfe_u32 v8, v5, 20, 11
	v_lshrrev_b32_e32 v9, 8, v7
	v_cmp_ne_u32_e32 vcc_lo, 0, v2
	v_bfe_u32 v10, v7, 20, 11
	v_lshrrev_b32_e32 v5, 16, v5
	v_sub_nc_u32_e32 v11, 0x3f1, v8
	v_add_nc_u32_e32 v8, 0xfffffc10, v8
	s_wait_alu 0xfffd
	v_cndmask_b32_e64 v2, 0, 1, vcc_lo
	v_cmp_ne_u32_e32 vcc_lo, 0, v6
	v_lshrrev_b32_e32 v7, 16, v7
	s_delay_alu instid0(VALU_DEP_3) | instskip(SKIP_4) | instid1(VALU_DEP_3)
	v_and_or_b32 v2, 0xffe, v4, v2
	s_wait_alu 0xfffd
	v_cndmask_b32_e64 v6, 0, 1, vcc_lo
	v_sub_nc_u32_e32 v4, 0x3f1, v10
	v_add_nc_u32_e32 v10, 0xfffffc10, v10
	v_and_or_b32 v6, 0xffe, v9, v6
	v_med3_i32 v9, v11, 0, 13
	v_or_b32_e32 v11, 0x1000, v2
	v_med3_i32 v4, v4, 0, 13
	s_delay_alu instid0(VALU_DEP_4) | instskip(NEXT) | instid1(VALU_DEP_3)
	v_or_b32_e32 v12, 0x1000, v6
	v_lshrrev_b32_e32 v13, v9, v11
	s_delay_alu instid0(VALU_DEP_2) | instskip(NEXT) | instid1(VALU_DEP_2)
	v_lshrrev_b32_e32 v14, v4, v12
	v_lshlrev_b32_e32 v9, v9, v13
	s_delay_alu instid0(VALU_DEP_2) | instskip(NEXT) | instid1(VALU_DEP_2)
	v_lshlrev_b32_e32 v4, v4, v14
	v_cmp_ne_u32_e32 vcc_lo, v9, v11
	v_lshl_or_b32 v11, v8, 12, v2
	s_wait_alu 0xfffd
	v_cndmask_b32_e64 v9, 0, 1, vcc_lo
	v_cmp_ne_u32_e32 vcc_lo, v4, v12
	v_lshl_or_b32 v12, v10, 12, v6
	s_delay_alu instid0(VALU_DEP_3) | instskip(SKIP_3) | instid1(VALU_DEP_2)
	v_or_b32_e32 v9, v13, v9
	s_wait_alu 0xfffd
	v_cndmask_b32_e64 v4, 0, 1, vcc_lo
	v_cmp_gt_i32_e32 vcc_lo, 1, v8
	v_or_b32_e32 v4, v14, v4
	s_wait_alu 0xfffd
	v_cndmask_b32_e32 v9, v11, v9, vcc_lo
	v_cmp_gt_i32_e32 vcc_lo, 1, v10
	s_wait_alu 0xfffd
	s_delay_alu instid0(VALU_DEP_2) | instskip(SKIP_2) | instid1(VALU_DEP_3)
	v_dual_cndmask_b32 v4, v12, v4 :: v_dual_and_b32 v11, 7, v9
	v_cmp_ne_u32_e32 vcc_lo, 0, v2
	v_lshrrev_b32_e32 v9, 2, v9
	v_cmp_eq_u32_e64 s0, 3, v11
	s_delay_alu instid0(VALU_DEP_4)
	v_and_b32_e32 v12, 7, v4
	s_wait_alu 0xfffd
	v_cndmask_b32_e64 v2, 0, 1, vcc_lo
	v_cmp_ne_u32_e32 vcc_lo, 0, v6
	v_lshrrev_b32_e32 v4, 2, v4
	v_cmp_lt_i32_e64 s1, 5, v12
	v_cmp_eq_u32_e64 s2, 3, v12
	s_wait_alu 0xfffd
	v_cndmask_b32_e64 v6, 0, 1, vcc_lo
	v_cmp_lt_i32_e32 vcc_lo, 5, v11
	v_lshl_or_b32 v2, v2, 9, 0x7c00
	s_delay_alu instid0(VALU_DEP_3)
	v_lshl_or_b32 v6, v6, 9, 0x7c00
	s_or_b32 vcc_lo, s0, vcc_lo
	s_wait_alu 0xfffe
	v_add_co_ci_u32_e32 v9, vcc_lo, 0, v9, vcc_lo
	s_or_b32 vcc_lo, s2, s1
	s_wait_alu 0xfffe
	v_add_co_ci_u32_e32 v4, vcc_lo, 0, v4, vcc_lo
	v_cmp_gt_i32_e32 vcc_lo, 31, v8
	s_wait_alu 0xfffd
	v_cndmask_b32_e32 v9, 0x7c00, v9, vcc_lo
	v_cmp_gt_i32_e32 vcc_lo, 31, v10
	s_wait_alu 0xfffd
	v_cndmask_b32_e32 v4, 0x7c00, v4, vcc_lo
	v_cmp_eq_u32_e32 vcc_lo, 0x40f, v8
	s_wait_alu 0xfffd
	v_cndmask_b32_e32 v2, v9, v2, vcc_lo
	v_cmp_eq_u32_e32 vcc_lo, 0x40f, v10
	s_delay_alu instid0(VALU_DEP_2)
	v_and_or_b32 v2, 0x8000, v5, v2
	s_wait_alu 0xfffd
	v_cndmask_b32_e32 v4, v4, v6, vcc_lo
	v_add_co_u32 v0, vcc_lo, v0, s6
	s_wait_alu 0xfffd
	v_add_co_ci_u32_e32 v1, vcc_lo, s7, v1, vcc_lo
	s_delay_alu instid0(VALU_DEP_3) | instskip(SKIP_1) | instid1(VALU_DEP_1)
	v_and_or_b32 v4, 0x8000, v7, v4
	v_and_b32_e32 v2, 0xffff, v2
	v_lshl_or_b32 v2, v4, 16, v2
	v_lshrrev_b32_e32 v4, 16, v3
	global_store_b32 v[0:1], v2, off
	global_load_b32 v2, v[16:17], off offset:1824
	s_wait_loadcnt 0x0
	v_lshrrev_b32_e32 v5, 16, v2
	s_delay_alu instid0(VALU_DEP_1) | instskip(SKIP_1) | instid1(VALU_DEP_2)
	v_mul_f16_e32 v6, v4, v5
	v_mul_f16_e32 v5, v3, v5
	v_fmac_f16_e32 v6, v3, v2
	s_delay_alu instid0(VALU_DEP_2) | instskip(NEXT) | instid1(VALU_DEP_2)
	v_fma_f16 v2, v2, v4, -v5
	v_cvt_f32_f16_e32 v3, v6
	s_delay_alu instid0(VALU_DEP_2) | instskip(NEXT) | instid1(VALU_DEP_2)
	v_cvt_f32_f16_e32 v4, v2
	v_cvt_f64_f32_e32 v[2:3], v3
	s_delay_alu instid0(VALU_DEP_2) | instskip(NEXT) | instid1(VALU_DEP_2)
	v_cvt_f64_f32_e32 v[4:5], v4
	v_mul_f64_e32 v[2:3], s[8:9], v[2:3]
	s_delay_alu instid0(VALU_DEP_2) | instskip(NEXT) | instid1(VALU_DEP_2)
	v_mul_f64_e32 v[4:5], s[8:9], v[4:5]
	v_and_or_b32 v2, 0x1ff, v3, v2
	s_delay_alu instid0(VALU_DEP_2)
	v_and_or_b32 v4, 0x1ff, v5, v4
	v_lshrrev_b32_e32 v6, 8, v3
	v_bfe_u32 v7, v3, 20, 11
	v_lshrrev_b32_e32 v8, 8, v5
	v_cmp_ne_u32_e32 vcc_lo, 0, v2
	v_bfe_u32 v9, v5, 20, 11
	v_lshrrev_b32_e32 v3, 16, v3
	v_sub_nc_u32_e32 v10, 0x3f1, v7
	v_add_nc_u32_e32 v7, 0xfffffc10, v7
	s_wait_alu 0xfffd
	v_cndmask_b32_e64 v2, 0, 1, vcc_lo
	v_cmp_ne_u32_e32 vcc_lo, 0, v4
	v_lshrrev_b32_e32 v5, 16, v5
	s_delay_alu instid0(VALU_DEP_3) | instskip(SKIP_4) | instid1(VALU_DEP_3)
	v_and_or_b32 v2, 0xffe, v6, v2
	s_wait_alu 0xfffd
	v_cndmask_b32_e64 v4, 0, 1, vcc_lo
	v_sub_nc_u32_e32 v6, 0x3f1, v9
	v_add_nc_u32_e32 v9, 0xfffffc10, v9
	v_and_or_b32 v4, 0xffe, v8, v4
	v_med3_i32 v8, v10, 0, 13
	v_or_b32_e32 v10, 0x1000, v2
	v_med3_i32 v6, v6, 0, 13
	s_delay_alu instid0(VALU_DEP_4) | instskip(NEXT) | instid1(VALU_DEP_3)
	v_or_b32_e32 v11, 0x1000, v4
	v_lshrrev_b32_e32 v12, v8, v10
	s_delay_alu instid0(VALU_DEP_2) | instskip(NEXT) | instid1(VALU_DEP_2)
	v_lshrrev_b32_e32 v13, v6, v11
	v_lshlrev_b32_e32 v8, v8, v12
	s_delay_alu instid0(VALU_DEP_2) | instskip(NEXT) | instid1(VALU_DEP_2)
	v_lshlrev_b32_e32 v6, v6, v13
	v_cmp_ne_u32_e32 vcc_lo, v8, v10
	v_lshl_or_b32 v10, v7, 12, v2
	s_wait_alu 0xfffd
	v_cndmask_b32_e64 v8, 0, 1, vcc_lo
	v_cmp_ne_u32_e32 vcc_lo, v6, v11
	v_lshl_or_b32 v11, v9, 12, v4
	s_delay_alu instid0(VALU_DEP_3) | instskip(SKIP_3) | instid1(VALU_DEP_2)
	v_or_b32_e32 v8, v12, v8
	s_wait_alu 0xfffd
	v_cndmask_b32_e64 v6, 0, 1, vcc_lo
	v_cmp_gt_i32_e32 vcc_lo, 1, v7
	v_or_b32_e32 v6, v13, v6
	s_wait_alu 0xfffd
	v_cndmask_b32_e32 v8, v10, v8, vcc_lo
	v_cmp_gt_i32_e32 vcc_lo, 1, v9
	s_delay_alu instid0(VALU_DEP_2)
	v_and_b32_e32 v10, 7, v8
	s_wait_alu 0xfffd
	v_cndmask_b32_e32 v6, v11, v6, vcc_lo
	v_cmp_ne_u32_e32 vcc_lo, 0, v2
	v_lshrrev_b32_e32 v8, 2, v8
	v_cmp_eq_u32_e64 s0, 3, v10
	s_delay_alu instid0(VALU_DEP_4)
	v_and_b32_e32 v11, 7, v6
	s_wait_alu 0xfffd
	v_cndmask_b32_e64 v2, 0, 1, vcc_lo
	v_cmp_ne_u32_e32 vcc_lo, 0, v4
	v_lshrrev_b32_e32 v6, 2, v6
	v_cmp_lt_i32_e64 s1, 5, v11
	v_cmp_eq_u32_e64 s2, 3, v11
	s_wait_alu 0xfffd
	v_cndmask_b32_e64 v4, 0, 1, vcc_lo
	v_cmp_lt_i32_e32 vcc_lo, 5, v10
	v_lshl_or_b32 v2, v2, 9, 0x7c00
	s_delay_alu instid0(VALU_DEP_3)
	v_lshl_or_b32 v4, v4, 9, 0x7c00
	s_or_b32 vcc_lo, s0, vcc_lo
	s_wait_alu 0xfffe
	v_add_co_ci_u32_e32 v8, vcc_lo, 0, v8, vcc_lo
	s_or_b32 vcc_lo, s2, s1
	s_wait_alu 0xfffe
	v_add_co_ci_u32_e32 v6, vcc_lo, 0, v6, vcc_lo
	v_cmp_gt_i32_e32 vcc_lo, 31, v7
	s_wait_alu 0xfffd
	v_cndmask_b32_e32 v8, 0x7c00, v8, vcc_lo
	v_cmp_gt_i32_e32 vcc_lo, 31, v9
	s_wait_alu 0xfffd
	v_cndmask_b32_e32 v6, 0x7c00, v6, vcc_lo
	v_cmp_eq_u32_e32 vcc_lo, 0x40f, v7
	s_wait_alu 0xfffd
	v_cndmask_b32_e32 v2, v8, v2, vcc_lo
	v_cmp_eq_u32_e32 vcc_lo, 0x40f, v9
	s_delay_alu instid0(VALU_DEP_2)
	v_and_or_b32 v2, 0x8000, v3, v2
	s_wait_alu 0xfffd
	v_cndmask_b32_e32 v4, v6, v4, vcc_lo
	v_add_co_u32 v0, vcc_lo, v0, s6
	s_wait_alu 0xfffd
	v_add_co_ci_u32_e32 v1, vcc_lo, s7, v1, vcc_lo
	s_delay_alu instid0(VALU_DEP_3) | instskip(SKIP_1) | instid1(VALU_DEP_1)
	v_and_or_b32 v3, 0x8000, v5, v4
	v_and_b32_e32 v2, 0xffff, v2
	v_lshl_or_b32 v2, v3, 16, v2
	global_store_b32 v[0:1], v2, off
	global_load_b32 v4, v[16:17], off offset:2148
	ds_load_2addr_b32 v[2:3], v62 offset0:25 offset1:106
	s_wait_dscnt 0x0
	v_lshrrev_b32_e32 v5, 16, v2
	s_wait_loadcnt 0x0
	v_lshrrev_b32_e32 v6, 16, v4
	s_delay_alu instid0(VALU_DEP_1) | instskip(SKIP_1) | instid1(VALU_DEP_2)
	v_mul_f16_e32 v7, v5, v6
	v_mul_f16_e32 v6, v2, v6
	v_fmac_f16_e32 v7, v2, v4
	s_delay_alu instid0(VALU_DEP_2) | instskip(NEXT) | instid1(VALU_DEP_2)
	v_fma_f16 v2, v4, v5, -v6
	v_cvt_f32_f16_e32 v4, v7
	s_delay_alu instid0(VALU_DEP_2) | instskip(NEXT) | instid1(VALU_DEP_2)
	v_cvt_f32_f16_e32 v2, v2
	v_cvt_f64_f32_e32 v[4:5], v4
	s_delay_alu instid0(VALU_DEP_2) | instskip(NEXT) | instid1(VALU_DEP_2)
	v_cvt_f64_f32_e32 v[6:7], v2
	v_mul_f64_e32 v[4:5], s[8:9], v[4:5]
	s_delay_alu instid0(VALU_DEP_2) | instskip(NEXT) | instid1(VALU_DEP_2)
	v_mul_f64_e32 v[6:7], s[8:9], v[6:7]
	v_and_or_b32 v2, 0x1ff, v5, v4
	s_delay_alu instid0(VALU_DEP_2)
	v_and_or_b32 v6, 0x1ff, v7, v6
	v_lshrrev_b32_e32 v4, 8, v5
	v_bfe_u32 v8, v5, 20, 11
	v_lshrrev_b32_e32 v9, 8, v7
	v_cmp_ne_u32_e32 vcc_lo, 0, v2
	v_bfe_u32 v10, v7, 20, 11
	v_lshrrev_b32_e32 v5, 16, v5
	v_sub_nc_u32_e32 v11, 0x3f1, v8
	v_add_nc_u32_e32 v8, 0xfffffc10, v8
	s_wait_alu 0xfffd
	v_cndmask_b32_e64 v2, 0, 1, vcc_lo
	v_cmp_ne_u32_e32 vcc_lo, 0, v6
	v_lshrrev_b32_e32 v7, 16, v7
	s_delay_alu instid0(VALU_DEP_3) | instskip(SKIP_4) | instid1(VALU_DEP_3)
	v_and_or_b32 v2, 0xffe, v4, v2
	s_wait_alu 0xfffd
	v_cndmask_b32_e64 v6, 0, 1, vcc_lo
	v_sub_nc_u32_e32 v4, 0x3f1, v10
	v_add_nc_u32_e32 v10, 0xfffffc10, v10
	v_and_or_b32 v6, 0xffe, v9, v6
	v_med3_i32 v9, v11, 0, 13
	v_or_b32_e32 v11, 0x1000, v2
	v_med3_i32 v4, v4, 0, 13
	s_delay_alu instid0(VALU_DEP_4) | instskip(NEXT) | instid1(VALU_DEP_3)
	v_or_b32_e32 v12, 0x1000, v6
	v_lshrrev_b32_e32 v13, v9, v11
	s_delay_alu instid0(VALU_DEP_2) | instskip(NEXT) | instid1(VALU_DEP_2)
	v_lshrrev_b32_e32 v14, v4, v12
	v_lshlrev_b32_e32 v9, v9, v13
	s_delay_alu instid0(VALU_DEP_2) | instskip(NEXT) | instid1(VALU_DEP_2)
	v_lshlrev_b32_e32 v4, v4, v14
	v_cmp_ne_u32_e32 vcc_lo, v9, v11
	v_lshl_or_b32 v11, v8, 12, v2
	s_wait_alu 0xfffd
	v_cndmask_b32_e64 v9, 0, 1, vcc_lo
	v_cmp_ne_u32_e32 vcc_lo, v4, v12
	v_lshl_or_b32 v12, v10, 12, v6
	s_delay_alu instid0(VALU_DEP_3) | instskip(SKIP_3) | instid1(VALU_DEP_2)
	v_or_b32_e32 v9, v13, v9
	s_wait_alu 0xfffd
	v_cndmask_b32_e64 v4, 0, 1, vcc_lo
	v_cmp_gt_i32_e32 vcc_lo, 1, v8
	v_or_b32_e32 v4, v14, v4
	s_wait_alu 0xfffd
	v_cndmask_b32_e32 v9, v11, v9, vcc_lo
	v_cmp_gt_i32_e32 vcc_lo, 1, v10
	s_wait_alu 0xfffd
	s_delay_alu instid0(VALU_DEP_2) | instskip(SKIP_2) | instid1(VALU_DEP_3)
	v_dual_cndmask_b32 v4, v12, v4 :: v_dual_and_b32 v11, 7, v9
	v_cmp_ne_u32_e32 vcc_lo, 0, v2
	v_lshrrev_b32_e32 v9, 2, v9
	v_cmp_eq_u32_e64 s0, 3, v11
	s_delay_alu instid0(VALU_DEP_4)
	v_and_b32_e32 v12, 7, v4
	s_wait_alu 0xfffd
	v_cndmask_b32_e64 v2, 0, 1, vcc_lo
	v_cmp_ne_u32_e32 vcc_lo, 0, v6
	v_lshrrev_b32_e32 v4, 2, v4
	v_cmp_lt_i32_e64 s1, 5, v12
	v_cmp_eq_u32_e64 s2, 3, v12
	s_wait_alu 0xfffd
	v_cndmask_b32_e64 v6, 0, 1, vcc_lo
	v_cmp_lt_i32_e32 vcc_lo, 5, v11
	v_lshl_or_b32 v2, v2, 9, 0x7c00
	s_delay_alu instid0(VALU_DEP_3)
	v_lshl_or_b32 v6, v6, 9, 0x7c00
	s_or_b32 vcc_lo, s0, vcc_lo
	s_wait_alu 0xfffe
	v_add_co_ci_u32_e32 v9, vcc_lo, 0, v9, vcc_lo
	s_or_b32 vcc_lo, s2, s1
	s_wait_alu 0xfffe
	v_add_co_ci_u32_e32 v4, vcc_lo, 0, v4, vcc_lo
	v_cmp_gt_i32_e32 vcc_lo, 31, v8
	s_wait_alu 0xfffd
	v_cndmask_b32_e32 v9, 0x7c00, v9, vcc_lo
	v_cmp_gt_i32_e32 vcc_lo, 31, v10
	s_wait_alu 0xfffd
	v_cndmask_b32_e32 v4, 0x7c00, v4, vcc_lo
	v_cmp_eq_u32_e32 vcc_lo, 0x40f, v8
	s_wait_alu 0xfffd
	v_cndmask_b32_e32 v2, v9, v2, vcc_lo
	v_cmp_eq_u32_e32 vcc_lo, 0x40f, v10
	s_delay_alu instid0(VALU_DEP_2)
	v_and_or_b32 v2, 0x8000, v5, v2
	s_wait_alu 0xfffd
	v_cndmask_b32_e32 v4, v4, v6, vcc_lo
	v_add_co_u32 v0, vcc_lo, v0, s6
	s_wait_alu 0xfffd
	v_add_co_ci_u32_e32 v1, vcc_lo, s7, v1, vcc_lo
	s_delay_alu instid0(VALU_DEP_3) | instskip(SKIP_1) | instid1(VALU_DEP_1)
	v_and_or_b32 v4, 0x8000, v7, v4
	v_and_b32_e32 v2, 0xffff, v2
	v_lshl_or_b32 v2, v4, 16, v2
	v_lshrrev_b32_e32 v4, 16, v3
	global_store_b32 v[0:1], v2, off
	global_load_b32 v2, v[16:17], off offset:2472
	s_wait_loadcnt 0x0
	v_lshrrev_b32_e32 v5, 16, v2
	s_delay_alu instid0(VALU_DEP_1) | instskip(SKIP_1) | instid1(VALU_DEP_2)
	v_mul_f16_e32 v6, v4, v5
	v_mul_f16_e32 v5, v3, v5
	v_fmac_f16_e32 v6, v3, v2
	s_delay_alu instid0(VALU_DEP_2) | instskip(NEXT) | instid1(VALU_DEP_2)
	v_fma_f16 v2, v2, v4, -v5
	v_cvt_f32_f16_e32 v3, v6
	s_delay_alu instid0(VALU_DEP_2) | instskip(NEXT) | instid1(VALU_DEP_2)
	v_cvt_f32_f16_e32 v4, v2
	v_cvt_f64_f32_e32 v[2:3], v3
	s_delay_alu instid0(VALU_DEP_2) | instskip(NEXT) | instid1(VALU_DEP_2)
	v_cvt_f64_f32_e32 v[4:5], v4
	v_mul_f64_e32 v[2:3], s[8:9], v[2:3]
	s_delay_alu instid0(VALU_DEP_2) | instskip(NEXT) | instid1(VALU_DEP_2)
	v_mul_f64_e32 v[4:5], s[8:9], v[4:5]
	v_and_or_b32 v2, 0x1ff, v3, v2
	s_delay_alu instid0(VALU_DEP_2)
	v_and_or_b32 v4, 0x1ff, v5, v4
	v_lshrrev_b32_e32 v6, 8, v3
	v_bfe_u32 v7, v3, 20, 11
	v_lshrrev_b32_e32 v8, 8, v5
	v_cmp_ne_u32_e32 vcc_lo, 0, v2
	v_bfe_u32 v9, v5, 20, 11
	v_lshrrev_b32_e32 v3, 16, v3
	v_sub_nc_u32_e32 v10, 0x3f1, v7
	v_add_nc_u32_e32 v7, 0xfffffc10, v7
	s_wait_alu 0xfffd
	v_cndmask_b32_e64 v2, 0, 1, vcc_lo
	v_cmp_ne_u32_e32 vcc_lo, 0, v4
	v_lshrrev_b32_e32 v5, 16, v5
	s_delay_alu instid0(VALU_DEP_3) | instskip(SKIP_4) | instid1(VALU_DEP_3)
	v_and_or_b32 v2, 0xffe, v6, v2
	s_wait_alu 0xfffd
	v_cndmask_b32_e64 v4, 0, 1, vcc_lo
	v_sub_nc_u32_e32 v6, 0x3f1, v9
	v_add_nc_u32_e32 v9, 0xfffffc10, v9
	v_and_or_b32 v4, 0xffe, v8, v4
	v_med3_i32 v8, v10, 0, 13
	v_or_b32_e32 v10, 0x1000, v2
	v_med3_i32 v6, v6, 0, 13
	s_delay_alu instid0(VALU_DEP_4) | instskip(NEXT) | instid1(VALU_DEP_3)
	v_or_b32_e32 v11, 0x1000, v4
	v_lshrrev_b32_e32 v12, v8, v10
	s_delay_alu instid0(VALU_DEP_2) | instskip(NEXT) | instid1(VALU_DEP_2)
	v_lshrrev_b32_e32 v13, v6, v11
	v_lshlrev_b32_e32 v8, v8, v12
	s_delay_alu instid0(VALU_DEP_2) | instskip(NEXT) | instid1(VALU_DEP_2)
	v_lshlrev_b32_e32 v6, v6, v13
	v_cmp_ne_u32_e32 vcc_lo, v8, v10
	v_lshl_or_b32 v10, v7, 12, v2
	s_wait_alu 0xfffd
	v_cndmask_b32_e64 v8, 0, 1, vcc_lo
	v_cmp_ne_u32_e32 vcc_lo, v6, v11
	v_lshl_or_b32 v11, v9, 12, v4
	s_delay_alu instid0(VALU_DEP_3) | instskip(SKIP_3) | instid1(VALU_DEP_2)
	v_or_b32_e32 v8, v12, v8
	s_wait_alu 0xfffd
	v_cndmask_b32_e64 v6, 0, 1, vcc_lo
	v_cmp_gt_i32_e32 vcc_lo, 1, v7
	v_or_b32_e32 v6, v13, v6
	s_wait_alu 0xfffd
	v_cndmask_b32_e32 v8, v10, v8, vcc_lo
	v_cmp_gt_i32_e32 vcc_lo, 1, v9
	s_delay_alu instid0(VALU_DEP_2)
	v_and_b32_e32 v10, 7, v8
	s_wait_alu 0xfffd
	v_cndmask_b32_e32 v6, v11, v6, vcc_lo
	v_cmp_ne_u32_e32 vcc_lo, 0, v2
	v_lshrrev_b32_e32 v8, 2, v8
	v_cmp_eq_u32_e64 s0, 3, v10
	s_delay_alu instid0(VALU_DEP_4)
	v_and_b32_e32 v11, 7, v6
	s_wait_alu 0xfffd
	v_cndmask_b32_e64 v2, 0, 1, vcc_lo
	v_cmp_ne_u32_e32 vcc_lo, 0, v4
	v_lshrrev_b32_e32 v6, 2, v6
	v_cmp_lt_i32_e64 s1, 5, v11
	v_cmp_eq_u32_e64 s2, 3, v11
	s_wait_alu 0xfffd
	v_cndmask_b32_e64 v4, 0, 1, vcc_lo
	v_cmp_lt_i32_e32 vcc_lo, 5, v10
	v_lshl_or_b32 v2, v2, 9, 0x7c00
	s_delay_alu instid0(VALU_DEP_3)
	v_lshl_or_b32 v4, v4, 9, 0x7c00
	s_or_b32 vcc_lo, s0, vcc_lo
	s_wait_alu 0xfffe
	v_add_co_ci_u32_e32 v8, vcc_lo, 0, v8, vcc_lo
	s_or_b32 vcc_lo, s2, s1
	s_wait_alu 0xfffe
	v_add_co_ci_u32_e32 v6, vcc_lo, 0, v6, vcc_lo
	v_cmp_gt_i32_e32 vcc_lo, 31, v7
	s_wait_alu 0xfffd
	v_cndmask_b32_e32 v8, 0x7c00, v8, vcc_lo
	v_cmp_gt_i32_e32 vcc_lo, 31, v9
	s_wait_alu 0xfffd
	v_cndmask_b32_e32 v6, 0x7c00, v6, vcc_lo
	v_cmp_eq_u32_e32 vcc_lo, 0x40f, v7
	s_wait_alu 0xfffd
	v_cndmask_b32_e32 v2, v8, v2, vcc_lo
	v_cmp_eq_u32_e32 vcc_lo, 0x40f, v9
	s_delay_alu instid0(VALU_DEP_2)
	v_and_or_b32 v2, 0x8000, v3, v2
	s_wait_alu 0xfffd
	v_cndmask_b32_e32 v4, v6, v4, vcc_lo
	v_add_co_u32 v0, vcc_lo, v0, s6
	s_wait_alu 0xfffd
	v_add_co_ci_u32_e32 v1, vcc_lo, s7, v1, vcc_lo
	s_delay_alu instid0(VALU_DEP_3) | instskip(SKIP_1) | instid1(VALU_DEP_1)
	v_and_or_b32 v3, 0x8000, v5, v4
	v_and_b32_e32 v2, 0xffff, v2
	v_lshl_or_b32 v2, v3, 16, v2
	global_store_b32 v[0:1], v2, off
	global_load_b32 v4, v[16:17], off offset:2796
	v_add_nc_u32_e32 v2, 0xa00, v88
	ds_load_2addr_b32 v[2:3], v2 offset0:59 offset1:140
	s_wait_dscnt 0x0
	v_lshrrev_b32_e32 v5, 16, v2
	s_wait_loadcnt 0x0
	v_lshrrev_b32_e32 v6, 16, v4
	s_delay_alu instid0(VALU_DEP_1) | instskip(SKIP_1) | instid1(VALU_DEP_2)
	v_mul_f16_e32 v7, v5, v6
	v_mul_f16_e32 v6, v2, v6
	v_fmac_f16_e32 v7, v2, v4
	s_delay_alu instid0(VALU_DEP_2) | instskip(NEXT) | instid1(VALU_DEP_2)
	v_fma_f16 v2, v4, v5, -v6
	v_cvt_f32_f16_e32 v4, v7
	s_delay_alu instid0(VALU_DEP_2) | instskip(NEXT) | instid1(VALU_DEP_2)
	v_cvt_f32_f16_e32 v2, v2
	v_cvt_f64_f32_e32 v[4:5], v4
	s_delay_alu instid0(VALU_DEP_2) | instskip(NEXT) | instid1(VALU_DEP_2)
	v_cvt_f64_f32_e32 v[6:7], v2
	v_mul_f64_e32 v[4:5], s[8:9], v[4:5]
	s_delay_alu instid0(VALU_DEP_2) | instskip(NEXT) | instid1(VALU_DEP_2)
	v_mul_f64_e32 v[6:7], s[8:9], v[6:7]
	v_and_or_b32 v2, 0x1ff, v5, v4
	s_delay_alu instid0(VALU_DEP_2)
	v_and_or_b32 v6, 0x1ff, v7, v6
	v_lshrrev_b32_e32 v4, 8, v5
	v_bfe_u32 v8, v5, 20, 11
	v_lshrrev_b32_e32 v9, 8, v7
	v_cmp_ne_u32_e32 vcc_lo, 0, v2
	v_bfe_u32 v10, v7, 20, 11
	v_lshrrev_b32_e32 v5, 16, v5
	v_sub_nc_u32_e32 v11, 0x3f1, v8
	v_add_nc_u32_e32 v8, 0xfffffc10, v8
	s_wait_alu 0xfffd
	v_cndmask_b32_e64 v2, 0, 1, vcc_lo
	v_cmp_ne_u32_e32 vcc_lo, 0, v6
	v_lshrrev_b32_e32 v7, 16, v7
	s_delay_alu instid0(VALU_DEP_3) | instskip(SKIP_4) | instid1(VALU_DEP_3)
	v_and_or_b32 v2, 0xffe, v4, v2
	s_wait_alu 0xfffd
	v_cndmask_b32_e64 v6, 0, 1, vcc_lo
	v_sub_nc_u32_e32 v4, 0x3f1, v10
	v_add_nc_u32_e32 v10, 0xfffffc10, v10
	v_and_or_b32 v6, 0xffe, v9, v6
	v_med3_i32 v9, v11, 0, 13
	v_or_b32_e32 v11, 0x1000, v2
	v_med3_i32 v4, v4, 0, 13
	s_delay_alu instid0(VALU_DEP_4) | instskip(NEXT) | instid1(VALU_DEP_3)
	v_or_b32_e32 v12, 0x1000, v6
	v_lshrrev_b32_e32 v13, v9, v11
	s_delay_alu instid0(VALU_DEP_2) | instskip(NEXT) | instid1(VALU_DEP_2)
	v_lshrrev_b32_e32 v14, v4, v12
	v_lshlrev_b32_e32 v9, v9, v13
	s_delay_alu instid0(VALU_DEP_2) | instskip(NEXT) | instid1(VALU_DEP_2)
	v_lshlrev_b32_e32 v4, v4, v14
	v_cmp_ne_u32_e32 vcc_lo, v9, v11
	v_lshl_or_b32 v11, v8, 12, v2
	s_wait_alu 0xfffd
	v_cndmask_b32_e64 v9, 0, 1, vcc_lo
	v_cmp_ne_u32_e32 vcc_lo, v4, v12
	v_lshl_or_b32 v12, v10, 12, v6
	s_delay_alu instid0(VALU_DEP_3) | instskip(SKIP_3) | instid1(VALU_DEP_2)
	v_or_b32_e32 v9, v13, v9
	s_wait_alu 0xfffd
	v_cndmask_b32_e64 v4, 0, 1, vcc_lo
	v_cmp_gt_i32_e32 vcc_lo, 1, v8
	v_or_b32_e32 v4, v14, v4
	s_wait_alu 0xfffd
	v_cndmask_b32_e32 v9, v11, v9, vcc_lo
	v_cmp_gt_i32_e32 vcc_lo, 1, v10
	s_wait_alu 0xfffd
	s_delay_alu instid0(VALU_DEP_2) | instskip(SKIP_2) | instid1(VALU_DEP_3)
	v_dual_cndmask_b32 v4, v12, v4 :: v_dual_and_b32 v11, 7, v9
	v_cmp_ne_u32_e32 vcc_lo, 0, v2
	v_lshrrev_b32_e32 v9, 2, v9
	v_cmp_eq_u32_e64 s0, 3, v11
	s_delay_alu instid0(VALU_DEP_4)
	v_and_b32_e32 v12, 7, v4
	s_wait_alu 0xfffd
	v_cndmask_b32_e64 v2, 0, 1, vcc_lo
	v_cmp_ne_u32_e32 vcc_lo, 0, v6
	v_lshrrev_b32_e32 v4, 2, v4
	v_cmp_lt_i32_e64 s1, 5, v12
	v_cmp_eq_u32_e64 s2, 3, v12
	s_wait_alu 0xfffd
	v_cndmask_b32_e64 v6, 0, 1, vcc_lo
	v_cmp_lt_i32_e32 vcc_lo, 5, v11
	v_lshl_or_b32 v2, v2, 9, 0x7c00
	s_delay_alu instid0(VALU_DEP_3)
	v_lshl_or_b32 v6, v6, 9, 0x7c00
	s_or_b32 vcc_lo, s0, vcc_lo
	s_wait_alu 0xfffe
	v_add_co_ci_u32_e32 v9, vcc_lo, 0, v9, vcc_lo
	s_or_b32 vcc_lo, s2, s1
	s_wait_alu 0xfffe
	v_add_co_ci_u32_e32 v4, vcc_lo, 0, v4, vcc_lo
	v_cmp_gt_i32_e32 vcc_lo, 31, v8
	s_wait_alu 0xfffd
	v_cndmask_b32_e32 v9, 0x7c00, v9, vcc_lo
	v_cmp_gt_i32_e32 vcc_lo, 31, v10
	s_wait_alu 0xfffd
	v_cndmask_b32_e32 v4, 0x7c00, v4, vcc_lo
	v_cmp_eq_u32_e32 vcc_lo, 0x40f, v8
	s_wait_alu 0xfffd
	v_cndmask_b32_e32 v2, v9, v2, vcc_lo
	v_cmp_eq_u32_e32 vcc_lo, 0x40f, v10
	s_delay_alu instid0(VALU_DEP_2)
	v_and_or_b32 v2, 0x8000, v5, v2
	s_wait_alu 0xfffd
	v_cndmask_b32_e32 v4, v4, v6, vcc_lo
	v_add_co_u32 v0, vcc_lo, v0, s6
	s_wait_alu 0xfffd
	v_add_co_ci_u32_e32 v1, vcc_lo, s7, v1, vcc_lo
	s_delay_alu instid0(VALU_DEP_3) | instskip(SKIP_1) | instid1(VALU_DEP_1)
	v_and_or_b32 v4, 0x8000, v7, v4
	v_and_b32_e32 v2, 0xffff, v2
	v_lshl_or_b32 v2, v4, 16, v2
	v_lshrrev_b32_e32 v4, 16, v3
	global_store_b32 v[0:1], v2, off
	global_load_b32 v2, v[16:17], off offset:3120
	s_wait_loadcnt 0x0
	v_lshrrev_b32_e32 v5, 16, v2
	s_delay_alu instid0(VALU_DEP_1) | instskip(SKIP_1) | instid1(VALU_DEP_2)
	v_mul_f16_e32 v6, v4, v5
	v_mul_f16_e32 v5, v3, v5
	v_fmac_f16_e32 v6, v3, v2
	s_delay_alu instid0(VALU_DEP_2) | instskip(NEXT) | instid1(VALU_DEP_2)
	v_fma_f16 v2, v2, v4, -v5
	v_cvt_f32_f16_e32 v3, v6
	s_delay_alu instid0(VALU_DEP_2) | instskip(NEXT) | instid1(VALU_DEP_2)
	v_cvt_f32_f16_e32 v4, v2
	v_cvt_f64_f32_e32 v[2:3], v3
	s_delay_alu instid0(VALU_DEP_2) | instskip(NEXT) | instid1(VALU_DEP_2)
	v_cvt_f64_f32_e32 v[4:5], v4
	v_mul_f64_e32 v[2:3], s[8:9], v[2:3]
	s_delay_alu instid0(VALU_DEP_2) | instskip(NEXT) | instid1(VALU_DEP_2)
	v_mul_f64_e32 v[4:5], s[8:9], v[4:5]
	v_and_or_b32 v2, 0x1ff, v3, v2
	s_delay_alu instid0(VALU_DEP_2)
	v_and_or_b32 v4, 0x1ff, v5, v4
	v_lshrrev_b32_e32 v6, 8, v3
	v_bfe_u32 v7, v3, 20, 11
	v_lshrrev_b32_e32 v8, 8, v5
	v_cmp_ne_u32_e32 vcc_lo, 0, v2
	v_bfe_u32 v9, v5, 20, 11
	v_lshrrev_b32_e32 v3, 16, v3
	v_sub_nc_u32_e32 v10, 0x3f1, v7
	v_add_nc_u32_e32 v7, 0xfffffc10, v7
	s_wait_alu 0xfffd
	v_cndmask_b32_e64 v2, 0, 1, vcc_lo
	v_cmp_ne_u32_e32 vcc_lo, 0, v4
	v_lshrrev_b32_e32 v5, 16, v5
	s_delay_alu instid0(VALU_DEP_3) | instskip(SKIP_4) | instid1(VALU_DEP_3)
	v_and_or_b32 v2, 0xffe, v6, v2
	s_wait_alu 0xfffd
	v_cndmask_b32_e64 v4, 0, 1, vcc_lo
	v_sub_nc_u32_e32 v6, 0x3f1, v9
	v_add_nc_u32_e32 v9, 0xfffffc10, v9
	v_and_or_b32 v4, 0xffe, v8, v4
	v_med3_i32 v8, v10, 0, 13
	v_or_b32_e32 v10, 0x1000, v2
	v_med3_i32 v6, v6, 0, 13
	s_delay_alu instid0(VALU_DEP_4) | instskip(NEXT) | instid1(VALU_DEP_3)
	v_or_b32_e32 v11, 0x1000, v4
	v_lshrrev_b32_e32 v12, v8, v10
	s_delay_alu instid0(VALU_DEP_2) | instskip(NEXT) | instid1(VALU_DEP_2)
	v_lshrrev_b32_e32 v13, v6, v11
	v_lshlrev_b32_e32 v8, v8, v12
	s_delay_alu instid0(VALU_DEP_2) | instskip(NEXT) | instid1(VALU_DEP_2)
	v_lshlrev_b32_e32 v6, v6, v13
	v_cmp_ne_u32_e32 vcc_lo, v8, v10
	v_lshl_or_b32 v10, v7, 12, v2
	s_wait_alu 0xfffd
	v_cndmask_b32_e64 v8, 0, 1, vcc_lo
	v_cmp_ne_u32_e32 vcc_lo, v6, v11
	v_lshl_or_b32 v11, v9, 12, v4
	s_delay_alu instid0(VALU_DEP_3) | instskip(SKIP_3) | instid1(VALU_DEP_2)
	v_or_b32_e32 v8, v12, v8
	s_wait_alu 0xfffd
	v_cndmask_b32_e64 v6, 0, 1, vcc_lo
	v_cmp_gt_i32_e32 vcc_lo, 1, v7
	v_or_b32_e32 v6, v13, v6
	s_wait_alu 0xfffd
	v_cndmask_b32_e32 v8, v10, v8, vcc_lo
	v_cmp_gt_i32_e32 vcc_lo, 1, v9
	s_delay_alu instid0(VALU_DEP_2)
	v_and_b32_e32 v10, 7, v8
	s_wait_alu 0xfffd
	v_cndmask_b32_e32 v6, v11, v6, vcc_lo
	v_cmp_ne_u32_e32 vcc_lo, 0, v2
	v_lshrrev_b32_e32 v8, 2, v8
	v_cmp_eq_u32_e64 s0, 3, v10
	s_delay_alu instid0(VALU_DEP_4)
	v_and_b32_e32 v11, 7, v6
	s_wait_alu 0xfffd
	v_cndmask_b32_e64 v2, 0, 1, vcc_lo
	v_cmp_ne_u32_e32 vcc_lo, 0, v4
	v_lshrrev_b32_e32 v6, 2, v6
	v_cmp_lt_i32_e64 s1, 5, v11
	v_cmp_eq_u32_e64 s2, 3, v11
	s_wait_alu 0xfffd
	v_cndmask_b32_e64 v4, 0, 1, vcc_lo
	v_cmp_lt_i32_e32 vcc_lo, 5, v10
	v_lshl_or_b32 v2, v2, 9, 0x7c00
	s_delay_alu instid0(VALU_DEP_3)
	v_lshl_or_b32 v4, v4, 9, 0x7c00
	s_or_b32 vcc_lo, s0, vcc_lo
	s_wait_alu 0xfffe
	v_add_co_ci_u32_e32 v8, vcc_lo, 0, v8, vcc_lo
	s_or_b32 vcc_lo, s2, s1
	s_wait_alu 0xfffe
	v_add_co_ci_u32_e32 v6, vcc_lo, 0, v6, vcc_lo
	v_cmp_gt_i32_e32 vcc_lo, 31, v7
	s_wait_alu 0xfffd
	v_cndmask_b32_e32 v8, 0x7c00, v8, vcc_lo
	v_cmp_gt_i32_e32 vcc_lo, 31, v9
	s_wait_alu 0xfffd
	v_cndmask_b32_e32 v6, 0x7c00, v6, vcc_lo
	v_cmp_eq_u32_e32 vcc_lo, 0x40f, v7
	s_wait_alu 0xfffd
	v_cndmask_b32_e32 v2, v8, v2, vcc_lo
	v_cmp_eq_u32_e32 vcc_lo, 0x40f, v9
	s_delay_alu instid0(VALU_DEP_2)
	v_and_or_b32 v2, 0x8000, v3, v2
	s_wait_alu 0xfffd
	v_cndmask_b32_e32 v4, v6, v4, vcc_lo
	v_add_co_u32 v0, vcc_lo, v0, s6
	s_wait_alu 0xfffd
	v_add_co_ci_u32_e32 v1, vcc_lo, s7, v1, vcc_lo
	s_delay_alu instid0(VALU_DEP_3) | instskip(SKIP_1) | instid1(VALU_DEP_1)
	v_and_or_b32 v3, 0x8000, v5, v4
	v_and_b32_e32 v2, 0xffff, v2
	v_lshl_or_b32 v2, v3, 16, v2
	global_store_b32 v[0:1], v2, off
	global_load_b32 v4, v[16:17], off offset:3444
	ds_load_2addr_b32 v[2:3], v61 offset0:93 offset1:174
	s_wait_dscnt 0x0
	v_lshrrev_b32_e32 v5, 16, v2
	s_wait_loadcnt 0x0
	v_lshrrev_b32_e32 v6, 16, v4
	s_delay_alu instid0(VALU_DEP_1) | instskip(SKIP_1) | instid1(VALU_DEP_2)
	v_mul_f16_e32 v7, v5, v6
	v_mul_f16_e32 v6, v2, v6
	v_fmac_f16_e32 v7, v2, v4
	s_delay_alu instid0(VALU_DEP_2) | instskip(NEXT) | instid1(VALU_DEP_2)
	v_fma_f16 v2, v4, v5, -v6
	v_cvt_f32_f16_e32 v4, v7
	s_delay_alu instid0(VALU_DEP_2) | instskip(NEXT) | instid1(VALU_DEP_2)
	v_cvt_f32_f16_e32 v2, v2
	v_cvt_f64_f32_e32 v[4:5], v4
	s_delay_alu instid0(VALU_DEP_2) | instskip(NEXT) | instid1(VALU_DEP_2)
	v_cvt_f64_f32_e32 v[6:7], v2
	v_mul_f64_e32 v[4:5], s[8:9], v[4:5]
	s_delay_alu instid0(VALU_DEP_2) | instskip(NEXT) | instid1(VALU_DEP_2)
	v_mul_f64_e32 v[6:7], s[8:9], v[6:7]
	v_and_or_b32 v2, 0x1ff, v5, v4
	s_delay_alu instid0(VALU_DEP_2)
	v_and_or_b32 v6, 0x1ff, v7, v6
	v_lshrrev_b32_e32 v4, 8, v5
	v_bfe_u32 v8, v5, 20, 11
	v_lshrrev_b32_e32 v9, 8, v7
	v_cmp_ne_u32_e32 vcc_lo, 0, v2
	v_bfe_u32 v10, v7, 20, 11
	v_lshrrev_b32_e32 v5, 16, v5
	v_sub_nc_u32_e32 v11, 0x3f1, v8
	v_add_nc_u32_e32 v8, 0xfffffc10, v8
	s_wait_alu 0xfffd
	v_cndmask_b32_e64 v2, 0, 1, vcc_lo
	v_cmp_ne_u32_e32 vcc_lo, 0, v6
	v_lshrrev_b32_e32 v7, 16, v7
	s_delay_alu instid0(VALU_DEP_3) | instskip(SKIP_4) | instid1(VALU_DEP_3)
	v_and_or_b32 v2, 0xffe, v4, v2
	s_wait_alu 0xfffd
	v_cndmask_b32_e64 v6, 0, 1, vcc_lo
	v_sub_nc_u32_e32 v4, 0x3f1, v10
	v_add_nc_u32_e32 v10, 0xfffffc10, v10
	v_and_or_b32 v6, 0xffe, v9, v6
	v_med3_i32 v9, v11, 0, 13
	v_or_b32_e32 v11, 0x1000, v2
	v_med3_i32 v4, v4, 0, 13
	s_delay_alu instid0(VALU_DEP_4) | instskip(NEXT) | instid1(VALU_DEP_3)
	v_or_b32_e32 v12, 0x1000, v6
	v_lshrrev_b32_e32 v13, v9, v11
	s_delay_alu instid0(VALU_DEP_2) | instskip(NEXT) | instid1(VALU_DEP_2)
	v_lshrrev_b32_e32 v14, v4, v12
	v_lshlrev_b32_e32 v9, v9, v13
	s_delay_alu instid0(VALU_DEP_2) | instskip(NEXT) | instid1(VALU_DEP_2)
	v_lshlrev_b32_e32 v4, v4, v14
	v_cmp_ne_u32_e32 vcc_lo, v9, v11
	v_lshl_or_b32 v11, v8, 12, v2
	s_wait_alu 0xfffd
	v_cndmask_b32_e64 v9, 0, 1, vcc_lo
	v_cmp_ne_u32_e32 vcc_lo, v4, v12
	v_lshl_or_b32 v12, v10, 12, v6
	s_delay_alu instid0(VALU_DEP_3) | instskip(SKIP_3) | instid1(VALU_DEP_2)
	v_or_b32_e32 v9, v13, v9
	s_wait_alu 0xfffd
	v_cndmask_b32_e64 v4, 0, 1, vcc_lo
	v_cmp_gt_i32_e32 vcc_lo, 1, v8
	v_or_b32_e32 v4, v14, v4
	s_wait_alu 0xfffd
	v_cndmask_b32_e32 v9, v11, v9, vcc_lo
	v_cmp_gt_i32_e32 vcc_lo, 1, v10
	s_wait_alu 0xfffd
	s_delay_alu instid0(VALU_DEP_2) | instskip(SKIP_2) | instid1(VALU_DEP_3)
	v_dual_cndmask_b32 v4, v12, v4 :: v_dual_and_b32 v11, 7, v9
	v_cmp_ne_u32_e32 vcc_lo, 0, v2
	v_lshrrev_b32_e32 v9, 2, v9
	v_cmp_eq_u32_e64 s0, 3, v11
	s_delay_alu instid0(VALU_DEP_4)
	v_and_b32_e32 v12, 7, v4
	s_wait_alu 0xfffd
	v_cndmask_b32_e64 v2, 0, 1, vcc_lo
	v_cmp_ne_u32_e32 vcc_lo, 0, v6
	v_lshrrev_b32_e32 v4, 2, v4
	v_cmp_lt_i32_e64 s1, 5, v12
	v_cmp_eq_u32_e64 s2, 3, v12
	s_wait_alu 0xfffd
	v_cndmask_b32_e64 v6, 0, 1, vcc_lo
	v_cmp_lt_i32_e32 vcc_lo, 5, v11
	v_lshl_or_b32 v2, v2, 9, 0x7c00
	s_delay_alu instid0(VALU_DEP_3)
	v_lshl_or_b32 v6, v6, 9, 0x7c00
	s_or_b32 vcc_lo, s0, vcc_lo
	s_wait_alu 0xfffe
	v_add_co_ci_u32_e32 v9, vcc_lo, 0, v9, vcc_lo
	s_or_b32 vcc_lo, s2, s1
	s_wait_alu 0xfffe
	v_add_co_ci_u32_e32 v4, vcc_lo, 0, v4, vcc_lo
	v_cmp_gt_i32_e32 vcc_lo, 31, v8
	s_wait_alu 0xfffd
	v_cndmask_b32_e32 v9, 0x7c00, v9, vcc_lo
	v_cmp_gt_i32_e32 vcc_lo, 31, v10
	s_wait_alu 0xfffd
	v_cndmask_b32_e32 v4, 0x7c00, v4, vcc_lo
	v_cmp_eq_u32_e32 vcc_lo, 0x40f, v8
	s_wait_alu 0xfffd
	v_cndmask_b32_e32 v2, v9, v2, vcc_lo
	v_cmp_eq_u32_e32 vcc_lo, 0x40f, v10
	s_delay_alu instid0(VALU_DEP_2)
	v_and_or_b32 v2, 0x8000, v5, v2
	s_wait_alu 0xfffd
	v_cndmask_b32_e32 v4, v4, v6, vcc_lo
	v_add_co_u32 v0, vcc_lo, v0, s6
	s_wait_alu 0xfffd
	v_add_co_ci_u32_e32 v1, vcc_lo, s7, v1, vcc_lo
	s_delay_alu instid0(VALU_DEP_3) | instskip(SKIP_1) | instid1(VALU_DEP_1)
	v_and_or_b32 v4, 0x8000, v7, v4
	v_and_b32_e32 v2, 0xffff, v2
	v_lshl_or_b32 v2, v4, 16, v2
	v_lshrrev_b32_e32 v4, 16, v3
	global_store_b32 v[0:1], v2, off
	global_load_b32 v2, v[16:17], off offset:3768
	s_wait_loadcnt 0x0
	v_lshrrev_b32_e32 v5, 16, v2
	s_delay_alu instid0(VALU_DEP_1) | instskip(SKIP_1) | instid1(VALU_DEP_2)
	v_mul_f16_e32 v6, v4, v5
	v_mul_f16_e32 v5, v3, v5
	v_fmac_f16_e32 v6, v3, v2
	s_delay_alu instid0(VALU_DEP_2) | instskip(NEXT) | instid1(VALU_DEP_2)
	v_fma_f16 v2, v2, v4, -v5
	v_cvt_f32_f16_e32 v3, v6
	s_delay_alu instid0(VALU_DEP_2) | instskip(NEXT) | instid1(VALU_DEP_2)
	v_cvt_f32_f16_e32 v4, v2
	v_cvt_f64_f32_e32 v[2:3], v3
	s_delay_alu instid0(VALU_DEP_2) | instskip(NEXT) | instid1(VALU_DEP_2)
	v_cvt_f64_f32_e32 v[4:5], v4
	v_mul_f64_e32 v[2:3], s[8:9], v[2:3]
	s_delay_alu instid0(VALU_DEP_2) | instskip(NEXT) | instid1(VALU_DEP_2)
	v_mul_f64_e32 v[4:5], s[8:9], v[4:5]
	v_and_or_b32 v2, 0x1ff, v3, v2
	s_delay_alu instid0(VALU_DEP_2)
	v_and_or_b32 v4, 0x1ff, v5, v4
	v_lshrrev_b32_e32 v6, 8, v3
	v_bfe_u32 v7, v3, 20, 11
	v_lshrrev_b32_e32 v8, 8, v5
	v_cmp_ne_u32_e32 vcc_lo, 0, v2
	v_bfe_u32 v9, v5, 20, 11
	v_lshrrev_b32_e32 v3, 16, v3
	v_sub_nc_u32_e32 v10, 0x3f1, v7
	v_add_nc_u32_e32 v7, 0xfffffc10, v7
	s_wait_alu 0xfffd
	v_cndmask_b32_e64 v2, 0, 1, vcc_lo
	v_cmp_ne_u32_e32 vcc_lo, 0, v4
	v_lshrrev_b32_e32 v5, 16, v5
	s_delay_alu instid0(VALU_DEP_3) | instskip(SKIP_4) | instid1(VALU_DEP_3)
	v_and_or_b32 v2, 0xffe, v6, v2
	s_wait_alu 0xfffd
	v_cndmask_b32_e64 v4, 0, 1, vcc_lo
	v_sub_nc_u32_e32 v6, 0x3f1, v9
	v_add_nc_u32_e32 v9, 0xfffffc10, v9
	v_and_or_b32 v4, 0xffe, v8, v4
	v_med3_i32 v8, v10, 0, 13
	v_or_b32_e32 v10, 0x1000, v2
	v_med3_i32 v6, v6, 0, 13
	s_delay_alu instid0(VALU_DEP_4) | instskip(NEXT) | instid1(VALU_DEP_3)
	v_or_b32_e32 v11, 0x1000, v4
	v_lshrrev_b32_e32 v12, v8, v10
	s_delay_alu instid0(VALU_DEP_2) | instskip(NEXT) | instid1(VALU_DEP_2)
	v_lshrrev_b32_e32 v13, v6, v11
	v_lshlrev_b32_e32 v8, v8, v12
	s_delay_alu instid0(VALU_DEP_2) | instskip(NEXT) | instid1(VALU_DEP_2)
	v_lshlrev_b32_e32 v6, v6, v13
	v_cmp_ne_u32_e32 vcc_lo, v8, v10
	v_lshl_or_b32 v10, v7, 12, v2
	s_wait_alu 0xfffd
	v_cndmask_b32_e64 v8, 0, 1, vcc_lo
	v_cmp_ne_u32_e32 vcc_lo, v6, v11
	v_lshl_or_b32 v11, v9, 12, v4
	s_delay_alu instid0(VALU_DEP_3) | instskip(SKIP_3) | instid1(VALU_DEP_2)
	v_or_b32_e32 v8, v12, v8
	s_wait_alu 0xfffd
	v_cndmask_b32_e64 v6, 0, 1, vcc_lo
	v_cmp_gt_i32_e32 vcc_lo, 1, v7
	v_or_b32_e32 v6, v13, v6
	s_wait_alu 0xfffd
	v_cndmask_b32_e32 v8, v10, v8, vcc_lo
	v_cmp_gt_i32_e32 vcc_lo, 1, v9
	s_delay_alu instid0(VALU_DEP_2)
	v_and_b32_e32 v10, 7, v8
	s_wait_alu 0xfffd
	v_cndmask_b32_e32 v6, v11, v6, vcc_lo
	v_cmp_ne_u32_e32 vcc_lo, 0, v2
	v_lshrrev_b32_e32 v8, 2, v8
	v_cmp_eq_u32_e64 s0, 3, v10
	s_delay_alu instid0(VALU_DEP_4)
	v_and_b32_e32 v11, 7, v6
	s_wait_alu 0xfffd
	v_cndmask_b32_e64 v2, 0, 1, vcc_lo
	v_cmp_ne_u32_e32 vcc_lo, 0, v4
	v_lshrrev_b32_e32 v6, 2, v6
	v_cmp_lt_i32_e64 s1, 5, v11
	v_cmp_eq_u32_e64 s2, 3, v11
	s_wait_alu 0xfffd
	v_cndmask_b32_e64 v4, 0, 1, vcc_lo
	v_cmp_lt_i32_e32 vcc_lo, 5, v10
	v_lshl_or_b32 v2, v2, 9, 0x7c00
	s_delay_alu instid0(VALU_DEP_3)
	v_lshl_or_b32 v4, v4, 9, 0x7c00
	s_or_b32 vcc_lo, s0, vcc_lo
	s_wait_alu 0xfffe
	v_add_co_ci_u32_e32 v8, vcc_lo, 0, v8, vcc_lo
	s_or_b32 vcc_lo, s2, s1
	s_wait_alu 0xfffe
	v_add_co_ci_u32_e32 v6, vcc_lo, 0, v6, vcc_lo
	v_cmp_gt_i32_e32 vcc_lo, 31, v7
	s_wait_alu 0xfffd
	v_cndmask_b32_e32 v8, 0x7c00, v8, vcc_lo
	v_cmp_gt_i32_e32 vcc_lo, 31, v9
	s_wait_alu 0xfffd
	v_cndmask_b32_e32 v6, 0x7c00, v6, vcc_lo
	v_cmp_eq_u32_e32 vcc_lo, 0x40f, v7
	s_wait_alu 0xfffd
	v_cndmask_b32_e32 v2, v8, v2, vcc_lo
	v_cmp_eq_u32_e32 vcc_lo, 0x40f, v9
	s_delay_alu instid0(VALU_DEP_2)
	v_and_or_b32 v2, 0x8000, v3, v2
	s_wait_alu 0xfffd
	v_cndmask_b32_e32 v4, v6, v4, vcc_lo
	v_add_co_u32 v0, vcc_lo, v0, s6
	s_wait_alu 0xfffd
	v_add_co_ci_u32_e32 v1, vcc_lo, s7, v1, vcc_lo
	s_delay_alu instid0(VALU_DEP_3) | instskip(SKIP_1) | instid1(VALU_DEP_1)
	v_and_or_b32 v3, 0x8000, v5, v4
	v_and_b32_e32 v2, 0xffff, v2
	v_lshl_or_b32 v2, v3, 16, v2
	global_store_b32 v[0:1], v2, off
	global_load_b32 v4, v[16:17], off offset:4092
	ds_load_2addr_b32 v[2:3], v24 offset0:127 offset1:208
	s_wait_dscnt 0x0
	v_lshrrev_b32_e32 v5, 16, v2
	s_wait_loadcnt 0x0
	v_lshrrev_b32_e32 v6, 16, v4
	s_delay_alu instid0(VALU_DEP_1) | instskip(SKIP_1) | instid1(VALU_DEP_2)
	v_mul_f16_e32 v7, v5, v6
	v_mul_f16_e32 v6, v2, v6
	v_fmac_f16_e32 v7, v2, v4
	s_delay_alu instid0(VALU_DEP_2) | instskip(NEXT) | instid1(VALU_DEP_2)
	v_fma_f16 v2, v4, v5, -v6
	v_cvt_f32_f16_e32 v4, v7
	s_delay_alu instid0(VALU_DEP_2) | instskip(NEXT) | instid1(VALU_DEP_2)
	v_cvt_f32_f16_e32 v2, v2
	v_cvt_f64_f32_e32 v[4:5], v4
	s_delay_alu instid0(VALU_DEP_2) | instskip(NEXT) | instid1(VALU_DEP_2)
	v_cvt_f64_f32_e32 v[6:7], v2
	v_mul_f64_e32 v[4:5], s[8:9], v[4:5]
	s_delay_alu instid0(VALU_DEP_2) | instskip(NEXT) | instid1(VALU_DEP_2)
	v_mul_f64_e32 v[6:7], s[8:9], v[6:7]
	v_and_or_b32 v2, 0x1ff, v5, v4
	s_delay_alu instid0(VALU_DEP_2)
	v_and_or_b32 v6, 0x1ff, v7, v6
	v_lshrrev_b32_e32 v4, 8, v5
	v_bfe_u32 v8, v5, 20, 11
	v_lshrrev_b32_e32 v9, 8, v7
	v_cmp_ne_u32_e32 vcc_lo, 0, v2
	v_bfe_u32 v10, v7, 20, 11
	v_lshrrev_b32_e32 v5, 16, v5
	v_sub_nc_u32_e32 v11, 0x3f1, v8
	v_add_nc_u32_e32 v8, 0xfffffc10, v8
	s_wait_alu 0xfffd
	v_cndmask_b32_e64 v2, 0, 1, vcc_lo
	v_cmp_ne_u32_e32 vcc_lo, 0, v6
	v_lshrrev_b32_e32 v7, 16, v7
	s_delay_alu instid0(VALU_DEP_3) | instskip(SKIP_4) | instid1(VALU_DEP_3)
	v_and_or_b32 v2, 0xffe, v4, v2
	s_wait_alu 0xfffd
	v_cndmask_b32_e64 v6, 0, 1, vcc_lo
	v_sub_nc_u32_e32 v4, 0x3f1, v10
	v_add_nc_u32_e32 v10, 0xfffffc10, v10
	v_and_or_b32 v6, 0xffe, v9, v6
	v_med3_i32 v9, v11, 0, 13
	v_or_b32_e32 v11, 0x1000, v2
	v_med3_i32 v4, v4, 0, 13
	s_delay_alu instid0(VALU_DEP_4) | instskip(NEXT) | instid1(VALU_DEP_3)
	v_or_b32_e32 v12, 0x1000, v6
	v_lshrrev_b32_e32 v13, v9, v11
	s_delay_alu instid0(VALU_DEP_2) | instskip(NEXT) | instid1(VALU_DEP_2)
	v_lshrrev_b32_e32 v14, v4, v12
	v_lshlrev_b32_e32 v9, v9, v13
	s_delay_alu instid0(VALU_DEP_2) | instskip(NEXT) | instid1(VALU_DEP_2)
	v_lshlrev_b32_e32 v4, v4, v14
	v_cmp_ne_u32_e32 vcc_lo, v9, v11
	v_lshl_or_b32 v11, v8, 12, v2
	s_wait_alu 0xfffd
	v_cndmask_b32_e64 v9, 0, 1, vcc_lo
	v_cmp_ne_u32_e32 vcc_lo, v4, v12
	v_lshl_or_b32 v12, v10, 12, v6
	s_delay_alu instid0(VALU_DEP_3) | instskip(SKIP_3) | instid1(VALU_DEP_2)
	v_or_b32_e32 v9, v13, v9
	s_wait_alu 0xfffd
	v_cndmask_b32_e64 v4, 0, 1, vcc_lo
	v_cmp_gt_i32_e32 vcc_lo, 1, v8
	v_or_b32_e32 v4, v14, v4
	s_wait_alu 0xfffd
	v_cndmask_b32_e32 v9, v11, v9, vcc_lo
	v_cmp_gt_i32_e32 vcc_lo, 1, v10
	s_wait_alu 0xfffd
	s_delay_alu instid0(VALU_DEP_2) | instskip(SKIP_2) | instid1(VALU_DEP_3)
	v_dual_cndmask_b32 v4, v12, v4 :: v_dual_and_b32 v11, 7, v9
	v_cmp_ne_u32_e32 vcc_lo, 0, v2
	v_lshrrev_b32_e32 v9, 2, v9
	v_cmp_eq_u32_e64 s0, 3, v11
	s_delay_alu instid0(VALU_DEP_4)
	v_and_b32_e32 v12, 7, v4
	s_wait_alu 0xfffd
	v_cndmask_b32_e64 v2, 0, 1, vcc_lo
	v_cmp_ne_u32_e32 vcc_lo, 0, v6
	v_lshrrev_b32_e32 v4, 2, v4
	v_cmp_lt_i32_e64 s1, 5, v12
	v_cmp_eq_u32_e64 s2, 3, v12
	s_wait_alu 0xfffd
	v_cndmask_b32_e64 v6, 0, 1, vcc_lo
	v_cmp_lt_i32_e32 vcc_lo, 5, v11
	v_lshl_or_b32 v2, v2, 9, 0x7c00
	s_delay_alu instid0(VALU_DEP_3)
	v_lshl_or_b32 v6, v6, 9, 0x7c00
	s_or_b32 vcc_lo, s0, vcc_lo
	s_wait_alu 0xfffe
	v_add_co_ci_u32_e32 v9, vcc_lo, 0, v9, vcc_lo
	s_or_b32 vcc_lo, s2, s1
	s_wait_alu 0xfffe
	v_add_co_ci_u32_e32 v4, vcc_lo, 0, v4, vcc_lo
	v_cmp_gt_i32_e32 vcc_lo, 31, v8
	s_wait_alu 0xfffd
	v_cndmask_b32_e32 v9, 0x7c00, v9, vcc_lo
	v_cmp_gt_i32_e32 vcc_lo, 31, v10
	s_wait_alu 0xfffd
	v_cndmask_b32_e32 v4, 0x7c00, v4, vcc_lo
	v_cmp_eq_u32_e32 vcc_lo, 0x40f, v8
	s_wait_alu 0xfffd
	v_cndmask_b32_e32 v2, v9, v2, vcc_lo
	v_cmp_eq_u32_e32 vcc_lo, 0x40f, v10
	s_delay_alu instid0(VALU_DEP_2)
	v_and_or_b32 v2, 0x8000, v5, v2
	s_wait_alu 0xfffd
	v_cndmask_b32_e32 v4, v4, v6, vcc_lo
	v_add_co_u32 v0, vcc_lo, v0, s6
	s_wait_alu 0xfffd
	v_add_co_ci_u32_e32 v1, vcc_lo, s7, v1, vcc_lo
	s_delay_alu instid0(VALU_DEP_3) | instskip(SKIP_1) | instid1(VALU_DEP_1)
	v_and_or_b32 v4, 0x8000, v7, v4
	v_and_b32_e32 v2, 0xffff, v2
	v_lshl_or_b32 v2, v4, 16, v2
	v_lshrrev_b32_e32 v4, 16, v3
	global_store_b32 v[0:1], v2, off
	global_load_b32 v2, v[16:17], off offset:4416
	s_wait_loadcnt 0x0
	v_lshrrev_b32_e32 v5, 16, v2
	s_delay_alu instid0(VALU_DEP_1) | instskip(SKIP_1) | instid1(VALU_DEP_2)
	v_mul_f16_e32 v6, v4, v5
	v_mul_f16_e32 v5, v3, v5
	v_fmac_f16_e32 v6, v3, v2
	s_delay_alu instid0(VALU_DEP_2) | instskip(NEXT) | instid1(VALU_DEP_2)
	v_fma_f16 v2, v2, v4, -v5
	v_cvt_f32_f16_e32 v3, v6
	s_delay_alu instid0(VALU_DEP_2) | instskip(NEXT) | instid1(VALU_DEP_2)
	v_cvt_f32_f16_e32 v4, v2
	v_cvt_f64_f32_e32 v[2:3], v3
	s_delay_alu instid0(VALU_DEP_2) | instskip(NEXT) | instid1(VALU_DEP_2)
	v_cvt_f64_f32_e32 v[4:5], v4
	v_mul_f64_e32 v[2:3], s[8:9], v[2:3]
	s_delay_alu instid0(VALU_DEP_2) | instskip(NEXT) | instid1(VALU_DEP_2)
	v_mul_f64_e32 v[4:5], s[8:9], v[4:5]
	v_and_or_b32 v2, 0x1ff, v3, v2
	s_delay_alu instid0(VALU_DEP_2)
	v_and_or_b32 v4, 0x1ff, v5, v4
	v_lshrrev_b32_e32 v6, 8, v3
	v_bfe_u32 v7, v3, 20, 11
	v_lshrrev_b32_e32 v8, 8, v5
	v_cmp_ne_u32_e32 vcc_lo, 0, v2
	v_bfe_u32 v9, v5, 20, 11
	v_lshrrev_b32_e32 v3, 16, v3
	v_sub_nc_u32_e32 v10, 0x3f1, v7
	v_add_nc_u32_e32 v7, 0xfffffc10, v7
	s_wait_alu 0xfffd
	v_cndmask_b32_e64 v2, 0, 1, vcc_lo
	v_cmp_ne_u32_e32 vcc_lo, 0, v4
	v_lshrrev_b32_e32 v5, 16, v5
	s_delay_alu instid0(VALU_DEP_3) | instskip(SKIP_4) | instid1(VALU_DEP_3)
	v_and_or_b32 v2, 0xffe, v6, v2
	s_wait_alu 0xfffd
	v_cndmask_b32_e64 v4, 0, 1, vcc_lo
	v_sub_nc_u32_e32 v6, 0x3f1, v9
	v_add_nc_u32_e32 v9, 0xfffffc10, v9
	v_and_or_b32 v4, 0xffe, v8, v4
	v_med3_i32 v8, v10, 0, 13
	v_or_b32_e32 v10, 0x1000, v2
	v_med3_i32 v6, v6, 0, 13
	s_delay_alu instid0(VALU_DEP_4) | instskip(NEXT) | instid1(VALU_DEP_3)
	v_or_b32_e32 v11, 0x1000, v4
	v_lshrrev_b32_e32 v12, v8, v10
	s_delay_alu instid0(VALU_DEP_2) | instskip(NEXT) | instid1(VALU_DEP_2)
	v_lshrrev_b32_e32 v13, v6, v11
	v_lshlrev_b32_e32 v8, v8, v12
	s_delay_alu instid0(VALU_DEP_2) | instskip(NEXT) | instid1(VALU_DEP_2)
	v_lshlrev_b32_e32 v6, v6, v13
	v_cmp_ne_u32_e32 vcc_lo, v8, v10
	v_lshl_or_b32 v10, v7, 12, v2
	s_wait_alu 0xfffd
	v_cndmask_b32_e64 v8, 0, 1, vcc_lo
	v_cmp_ne_u32_e32 vcc_lo, v6, v11
	v_lshl_or_b32 v11, v9, 12, v4
	s_delay_alu instid0(VALU_DEP_3) | instskip(SKIP_3) | instid1(VALU_DEP_2)
	v_or_b32_e32 v8, v12, v8
	s_wait_alu 0xfffd
	v_cndmask_b32_e64 v6, 0, 1, vcc_lo
	v_cmp_gt_i32_e32 vcc_lo, 1, v7
	v_or_b32_e32 v6, v13, v6
	s_wait_alu 0xfffd
	v_cndmask_b32_e32 v8, v10, v8, vcc_lo
	v_cmp_gt_i32_e32 vcc_lo, 1, v9
	s_delay_alu instid0(VALU_DEP_2)
	v_and_b32_e32 v10, 7, v8
	s_wait_alu 0xfffd
	v_cndmask_b32_e32 v6, v11, v6, vcc_lo
	v_cmp_ne_u32_e32 vcc_lo, 0, v2
	v_lshrrev_b32_e32 v8, 2, v8
	v_cmp_eq_u32_e64 s0, 3, v10
	s_delay_alu instid0(VALU_DEP_4)
	v_and_b32_e32 v11, 7, v6
	s_wait_alu 0xfffd
	v_cndmask_b32_e64 v2, 0, 1, vcc_lo
	v_cmp_ne_u32_e32 vcc_lo, 0, v4
	v_lshrrev_b32_e32 v6, 2, v6
	v_cmp_lt_i32_e64 s1, 5, v11
	v_cmp_eq_u32_e64 s2, 3, v11
	s_wait_alu 0xfffd
	v_cndmask_b32_e64 v4, 0, 1, vcc_lo
	v_cmp_lt_i32_e32 vcc_lo, 5, v10
	v_lshl_or_b32 v2, v2, 9, 0x7c00
	s_delay_alu instid0(VALU_DEP_3)
	v_lshl_or_b32 v4, v4, 9, 0x7c00
	s_or_b32 vcc_lo, s0, vcc_lo
	s_wait_alu 0xfffe
	v_add_co_ci_u32_e32 v8, vcc_lo, 0, v8, vcc_lo
	s_or_b32 vcc_lo, s2, s1
	s_wait_alu 0xfffe
	v_add_co_ci_u32_e32 v6, vcc_lo, 0, v6, vcc_lo
	v_cmp_gt_i32_e32 vcc_lo, 31, v7
	s_wait_alu 0xfffd
	v_cndmask_b32_e32 v8, 0x7c00, v8, vcc_lo
	v_cmp_gt_i32_e32 vcc_lo, 31, v9
	s_wait_alu 0xfffd
	v_cndmask_b32_e32 v6, 0x7c00, v6, vcc_lo
	v_cmp_eq_u32_e32 vcc_lo, 0x40f, v7
	s_wait_alu 0xfffd
	v_cndmask_b32_e32 v2, v8, v2, vcc_lo
	v_cmp_eq_u32_e32 vcc_lo, 0x40f, v9
	s_delay_alu instid0(VALU_DEP_2)
	v_and_or_b32 v2, 0x8000, v3, v2
	s_wait_alu 0xfffd
	v_cndmask_b32_e32 v4, v6, v4, vcc_lo
	v_add_co_u32 v0, vcc_lo, v0, s6
	s_wait_alu 0xfffd
	v_add_co_ci_u32_e32 v1, vcc_lo, s7, v1, vcc_lo
	s_delay_alu instid0(VALU_DEP_3) | instskip(SKIP_1) | instid1(VALU_DEP_1)
	v_and_or_b32 v3, 0x8000, v5, v4
	v_and_b32_e32 v2, 0xffff, v2
	v_lshl_or_b32 v2, v3, 16, v2
	global_store_b32 v[0:1], v2, off
	global_load_b32 v4, v[16:17], off offset:4740
	ds_load_2addr_b32 v[2:3], v23 offset0:161 offset1:242
	s_wait_dscnt 0x0
	v_lshrrev_b32_e32 v5, 16, v2
	s_wait_loadcnt 0x0
	v_lshrrev_b32_e32 v6, 16, v4
	s_delay_alu instid0(VALU_DEP_1) | instskip(SKIP_1) | instid1(VALU_DEP_2)
	v_mul_f16_e32 v7, v5, v6
	v_mul_f16_e32 v6, v2, v6
	v_fmac_f16_e32 v7, v2, v4
	s_delay_alu instid0(VALU_DEP_2) | instskip(NEXT) | instid1(VALU_DEP_2)
	v_fma_f16 v2, v4, v5, -v6
	v_cvt_f32_f16_e32 v4, v7
	s_delay_alu instid0(VALU_DEP_2) | instskip(NEXT) | instid1(VALU_DEP_2)
	v_cvt_f32_f16_e32 v2, v2
	v_cvt_f64_f32_e32 v[4:5], v4
	s_delay_alu instid0(VALU_DEP_2) | instskip(NEXT) | instid1(VALU_DEP_2)
	v_cvt_f64_f32_e32 v[6:7], v2
	v_mul_f64_e32 v[4:5], s[8:9], v[4:5]
	s_delay_alu instid0(VALU_DEP_2) | instskip(NEXT) | instid1(VALU_DEP_2)
	v_mul_f64_e32 v[6:7], s[8:9], v[6:7]
	v_and_or_b32 v2, 0x1ff, v5, v4
	s_delay_alu instid0(VALU_DEP_2)
	v_and_or_b32 v6, 0x1ff, v7, v6
	v_lshrrev_b32_e32 v4, 8, v5
	v_bfe_u32 v8, v5, 20, 11
	v_lshrrev_b32_e32 v9, 8, v7
	v_cmp_ne_u32_e32 vcc_lo, 0, v2
	v_bfe_u32 v10, v7, 20, 11
	v_lshrrev_b32_e32 v5, 16, v5
	v_sub_nc_u32_e32 v11, 0x3f1, v8
	v_add_nc_u32_e32 v8, 0xfffffc10, v8
	s_wait_alu 0xfffd
	v_cndmask_b32_e64 v2, 0, 1, vcc_lo
	v_cmp_ne_u32_e32 vcc_lo, 0, v6
	v_lshrrev_b32_e32 v7, 16, v7
	s_delay_alu instid0(VALU_DEP_3) | instskip(SKIP_4) | instid1(VALU_DEP_3)
	v_and_or_b32 v2, 0xffe, v4, v2
	s_wait_alu 0xfffd
	v_cndmask_b32_e64 v6, 0, 1, vcc_lo
	v_sub_nc_u32_e32 v4, 0x3f1, v10
	v_add_nc_u32_e32 v10, 0xfffffc10, v10
	v_and_or_b32 v6, 0xffe, v9, v6
	v_med3_i32 v9, v11, 0, 13
	v_or_b32_e32 v11, 0x1000, v2
	v_med3_i32 v4, v4, 0, 13
	s_delay_alu instid0(VALU_DEP_4) | instskip(NEXT) | instid1(VALU_DEP_3)
	v_or_b32_e32 v12, 0x1000, v6
	v_lshrrev_b32_e32 v13, v9, v11
	s_delay_alu instid0(VALU_DEP_2) | instskip(NEXT) | instid1(VALU_DEP_2)
	v_lshrrev_b32_e32 v14, v4, v12
	v_lshlrev_b32_e32 v9, v9, v13
	s_delay_alu instid0(VALU_DEP_2) | instskip(NEXT) | instid1(VALU_DEP_2)
	v_lshlrev_b32_e32 v4, v4, v14
	v_cmp_ne_u32_e32 vcc_lo, v9, v11
	v_lshl_or_b32 v11, v8, 12, v2
	s_wait_alu 0xfffd
	v_cndmask_b32_e64 v9, 0, 1, vcc_lo
	v_cmp_ne_u32_e32 vcc_lo, v4, v12
	v_lshl_or_b32 v12, v10, 12, v6
	s_delay_alu instid0(VALU_DEP_3) | instskip(SKIP_3) | instid1(VALU_DEP_2)
	v_or_b32_e32 v9, v13, v9
	s_wait_alu 0xfffd
	v_cndmask_b32_e64 v4, 0, 1, vcc_lo
	v_cmp_gt_i32_e32 vcc_lo, 1, v8
	v_or_b32_e32 v4, v14, v4
	s_wait_alu 0xfffd
	v_cndmask_b32_e32 v9, v11, v9, vcc_lo
	v_cmp_gt_i32_e32 vcc_lo, 1, v10
	s_wait_alu 0xfffd
	s_delay_alu instid0(VALU_DEP_2) | instskip(SKIP_2) | instid1(VALU_DEP_3)
	v_dual_cndmask_b32 v4, v12, v4 :: v_dual_and_b32 v11, 7, v9
	v_cmp_ne_u32_e32 vcc_lo, 0, v2
	v_lshrrev_b32_e32 v9, 2, v9
	v_cmp_eq_u32_e64 s0, 3, v11
	s_delay_alu instid0(VALU_DEP_4)
	v_and_b32_e32 v12, 7, v4
	s_wait_alu 0xfffd
	v_cndmask_b32_e64 v2, 0, 1, vcc_lo
	v_cmp_ne_u32_e32 vcc_lo, 0, v6
	v_lshrrev_b32_e32 v4, 2, v4
	v_cmp_lt_i32_e64 s1, 5, v12
	v_cmp_eq_u32_e64 s2, 3, v12
	s_wait_alu 0xfffd
	v_cndmask_b32_e64 v6, 0, 1, vcc_lo
	v_cmp_lt_i32_e32 vcc_lo, 5, v11
	v_lshl_or_b32 v2, v2, 9, 0x7c00
	s_delay_alu instid0(VALU_DEP_3)
	v_lshl_or_b32 v6, v6, 9, 0x7c00
	s_or_b32 vcc_lo, s0, vcc_lo
	s_wait_alu 0xfffe
	v_add_co_ci_u32_e32 v9, vcc_lo, 0, v9, vcc_lo
	s_or_b32 vcc_lo, s2, s1
	s_wait_alu 0xfffe
	v_add_co_ci_u32_e32 v4, vcc_lo, 0, v4, vcc_lo
	v_cmp_gt_i32_e32 vcc_lo, 31, v8
	s_wait_alu 0xfffd
	v_cndmask_b32_e32 v9, 0x7c00, v9, vcc_lo
	v_cmp_gt_i32_e32 vcc_lo, 31, v10
	s_wait_alu 0xfffd
	v_cndmask_b32_e32 v4, 0x7c00, v4, vcc_lo
	v_cmp_eq_u32_e32 vcc_lo, 0x40f, v8
	s_wait_alu 0xfffd
	v_cndmask_b32_e32 v2, v9, v2, vcc_lo
	v_cmp_eq_u32_e32 vcc_lo, 0x40f, v10
	s_delay_alu instid0(VALU_DEP_2)
	v_and_or_b32 v2, 0x8000, v5, v2
	s_wait_alu 0xfffd
	v_cndmask_b32_e32 v4, v4, v6, vcc_lo
	v_add_co_u32 v0, vcc_lo, v0, s6
	s_wait_alu 0xfffd
	v_add_co_ci_u32_e32 v1, vcc_lo, s7, v1, vcc_lo
	s_delay_alu instid0(VALU_DEP_3) | instskip(SKIP_1) | instid1(VALU_DEP_1)
	v_and_or_b32 v4, 0x8000, v7, v4
	v_and_b32_e32 v2, 0xffff, v2
	v_lshl_or_b32 v2, v4, 16, v2
	v_lshrrev_b32_e32 v4, 16, v3
	global_store_b32 v[0:1], v2, off
	global_load_b32 v2, v[16:17], off offset:5064
	s_wait_loadcnt 0x0
	v_lshrrev_b32_e32 v5, 16, v2
	s_delay_alu instid0(VALU_DEP_1) | instskip(SKIP_1) | instid1(VALU_DEP_2)
	v_mul_f16_e32 v6, v4, v5
	v_mul_f16_e32 v5, v3, v5
	v_fmac_f16_e32 v6, v3, v2
	s_delay_alu instid0(VALU_DEP_2) | instskip(NEXT) | instid1(VALU_DEP_2)
	v_fma_f16 v2, v2, v4, -v5
	v_cvt_f32_f16_e32 v3, v6
	s_delay_alu instid0(VALU_DEP_2) | instskip(NEXT) | instid1(VALU_DEP_2)
	v_cvt_f32_f16_e32 v4, v2
	v_cvt_f64_f32_e32 v[2:3], v3
	s_delay_alu instid0(VALU_DEP_2) | instskip(NEXT) | instid1(VALU_DEP_2)
	v_cvt_f64_f32_e32 v[4:5], v4
	v_mul_f64_e32 v[2:3], s[8:9], v[2:3]
	s_delay_alu instid0(VALU_DEP_2) | instskip(NEXT) | instid1(VALU_DEP_2)
	v_mul_f64_e32 v[4:5], s[8:9], v[4:5]
	v_and_or_b32 v2, 0x1ff, v3, v2
	s_delay_alu instid0(VALU_DEP_2)
	v_and_or_b32 v4, 0x1ff, v5, v4
	v_lshrrev_b32_e32 v6, 8, v3
	v_bfe_u32 v7, v3, 20, 11
	v_lshrrev_b32_e32 v8, 8, v5
	v_cmp_ne_u32_e32 vcc_lo, 0, v2
	v_bfe_u32 v9, v5, 20, 11
	v_lshrrev_b32_e32 v3, 16, v3
	v_sub_nc_u32_e32 v10, 0x3f1, v7
	v_add_nc_u32_e32 v7, 0xfffffc10, v7
	s_wait_alu 0xfffd
	v_cndmask_b32_e64 v2, 0, 1, vcc_lo
	v_cmp_ne_u32_e32 vcc_lo, 0, v4
	v_lshrrev_b32_e32 v5, 16, v5
	s_delay_alu instid0(VALU_DEP_3) | instskip(SKIP_4) | instid1(VALU_DEP_3)
	v_and_or_b32 v2, 0xffe, v6, v2
	s_wait_alu 0xfffd
	v_cndmask_b32_e64 v4, 0, 1, vcc_lo
	v_sub_nc_u32_e32 v6, 0x3f1, v9
	v_add_nc_u32_e32 v9, 0xfffffc10, v9
	v_and_or_b32 v4, 0xffe, v8, v4
	v_med3_i32 v8, v10, 0, 13
	v_or_b32_e32 v10, 0x1000, v2
	v_med3_i32 v6, v6, 0, 13
	s_delay_alu instid0(VALU_DEP_4) | instskip(NEXT) | instid1(VALU_DEP_3)
	v_or_b32_e32 v11, 0x1000, v4
	v_lshrrev_b32_e32 v12, v8, v10
	s_delay_alu instid0(VALU_DEP_2) | instskip(NEXT) | instid1(VALU_DEP_2)
	v_lshrrev_b32_e32 v13, v6, v11
	v_lshlrev_b32_e32 v8, v8, v12
	s_delay_alu instid0(VALU_DEP_2) | instskip(NEXT) | instid1(VALU_DEP_2)
	v_lshlrev_b32_e32 v6, v6, v13
	v_cmp_ne_u32_e32 vcc_lo, v8, v10
	v_lshl_or_b32 v10, v7, 12, v2
	s_wait_alu 0xfffd
	v_cndmask_b32_e64 v8, 0, 1, vcc_lo
	v_cmp_ne_u32_e32 vcc_lo, v6, v11
	v_lshl_or_b32 v11, v9, 12, v4
	s_delay_alu instid0(VALU_DEP_3) | instskip(SKIP_3) | instid1(VALU_DEP_2)
	v_or_b32_e32 v8, v12, v8
	s_wait_alu 0xfffd
	v_cndmask_b32_e64 v6, 0, 1, vcc_lo
	v_cmp_gt_i32_e32 vcc_lo, 1, v7
	v_or_b32_e32 v6, v13, v6
	s_wait_alu 0xfffd
	v_cndmask_b32_e32 v8, v10, v8, vcc_lo
	v_cmp_gt_i32_e32 vcc_lo, 1, v9
	s_delay_alu instid0(VALU_DEP_2)
	v_and_b32_e32 v10, 7, v8
	s_wait_alu 0xfffd
	v_cndmask_b32_e32 v6, v11, v6, vcc_lo
	v_cmp_ne_u32_e32 vcc_lo, 0, v2
	v_lshrrev_b32_e32 v8, 2, v8
	v_cmp_eq_u32_e64 s0, 3, v10
	s_delay_alu instid0(VALU_DEP_4)
	v_and_b32_e32 v11, 7, v6
	s_wait_alu 0xfffd
	v_cndmask_b32_e64 v2, 0, 1, vcc_lo
	v_cmp_ne_u32_e32 vcc_lo, 0, v4
	v_lshrrev_b32_e32 v6, 2, v6
	v_cmp_lt_i32_e64 s1, 5, v11
	v_cmp_eq_u32_e64 s2, 3, v11
	s_wait_alu 0xfffd
	v_cndmask_b32_e64 v4, 0, 1, vcc_lo
	v_cmp_lt_i32_e32 vcc_lo, 5, v10
	v_lshl_or_b32 v2, v2, 9, 0x7c00
	s_delay_alu instid0(VALU_DEP_3)
	v_lshl_or_b32 v4, v4, 9, 0x7c00
	s_or_b32 vcc_lo, s0, vcc_lo
	s_wait_alu 0xfffe
	v_add_co_ci_u32_e32 v8, vcc_lo, 0, v8, vcc_lo
	s_or_b32 vcc_lo, s2, s1
	s_wait_alu 0xfffe
	v_add_co_ci_u32_e32 v6, vcc_lo, 0, v6, vcc_lo
	v_cmp_gt_i32_e32 vcc_lo, 31, v7
	s_wait_alu 0xfffd
	v_cndmask_b32_e32 v8, 0x7c00, v8, vcc_lo
	v_cmp_gt_i32_e32 vcc_lo, 31, v9
	s_wait_alu 0xfffd
	v_cndmask_b32_e32 v6, 0x7c00, v6, vcc_lo
	v_cmp_eq_u32_e32 vcc_lo, 0x40f, v7
	s_wait_alu 0xfffd
	v_cndmask_b32_e32 v2, v8, v2, vcc_lo
	v_cmp_eq_u32_e32 vcc_lo, 0x40f, v9
	s_delay_alu instid0(VALU_DEP_2)
	v_and_or_b32 v2, 0x8000, v3, v2
	s_wait_alu 0xfffd
	v_cndmask_b32_e32 v4, v6, v4, vcc_lo
	v_add_co_u32 v0, vcc_lo, v0, s6
	s_wait_alu 0xfffd
	v_add_co_ci_u32_e32 v1, vcc_lo, s7, v1, vcc_lo
	s_delay_alu instid0(VALU_DEP_3) | instskip(SKIP_1) | instid1(VALU_DEP_1)
	v_and_or_b32 v3, 0x8000, v5, v4
	v_and_b32_e32 v2, 0xffff, v2
	v_lshl_or_b32 v2, v3, 16, v2
	ds_load_b32 v3, v88 offset:5388
	global_store_b32 v[0:1], v2, off
	global_load_b32 v2, v[16:17], off offset:5388
	s_wait_dscnt 0x0
	v_lshrrev_b32_e32 v4, 16, v3
	s_wait_loadcnt 0x0
	v_lshrrev_b32_e32 v5, 16, v2
	s_delay_alu instid0(VALU_DEP_1) | instskip(SKIP_1) | instid1(VALU_DEP_2)
	v_mul_f16_e32 v6, v4, v5
	v_mul_f16_e32 v5, v3, v5
	v_fmac_f16_e32 v6, v3, v2
	s_delay_alu instid0(VALU_DEP_2) | instskip(NEXT) | instid1(VALU_DEP_2)
	v_fma_f16 v2, v2, v4, -v5
	v_cvt_f32_f16_e32 v3, v6
	s_delay_alu instid0(VALU_DEP_2) | instskip(NEXT) | instid1(VALU_DEP_2)
	v_cvt_f32_f16_e32 v4, v2
	v_cvt_f64_f32_e32 v[2:3], v3
	s_delay_alu instid0(VALU_DEP_2) | instskip(NEXT) | instid1(VALU_DEP_2)
	v_cvt_f64_f32_e32 v[4:5], v4
	v_mul_f64_e32 v[2:3], s[8:9], v[2:3]
	s_delay_alu instid0(VALU_DEP_2) | instskip(NEXT) | instid1(VALU_DEP_2)
	v_mul_f64_e32 v[4:5], s[8:9], v[4:5]
	v_and_or_b32 v2, 0x1ff, v3, v2
	s_delay_alu instid0(VALU_DEP_2)
	v_and_or_b32 v4, 0x1ff, v5, v4
	v_lshrrev_b32_e32 v6, 8, v3
	v_bfe_u32 v7, v3, 20, 11
	v_lshrrev_b32_e32 v8, 8, v5
	v_cmp_ne_u32_e32 vcc_lo, 0, v2
	v_bfe_u32 v9, v5, 20, 11
	v_lshrrev_b32_e32 v3, 16, v3
	v_sub_nc_u32_e32 v10, 0x3f1, v7
	v_add_nc_u32_e32 v7, 0xfffffc10, v7
	s_wait_alu 0xfffd
	v_cndmask_b32_e64 v2, 0, 1, vcc_lo
	v_cmp_ne_u32_e32 vcc_lo, 0, v4
	v_lshrrev_b32_e32 v5, 16, v5
	s_delay_alu instid0(VALU_DEP_3) | instskip(SKIP_4) | instid1(VALU_DEP_3)
	v_and_or_b32 v2, 0xffe, v6, v2
	s_wait_alu 0xfffd
	v_cndmask_b32_e64 v4, 0, 1, vcc_lo
	v_sub_nc_u32_e32 v6, 0x3f1, v9
	v_add_nc_u32_e32 v9, 0xfffffc10, v9
	v_and_or_b32 v4, 0xffe, v8, v4
	v_med3_i32 v8, v10, 0, 13
	v_or_b32_e32 v10, 0x1000, v2
	v_med3_i32 v6, v6, 0, 13
	s_delay_alu instid0(VALU_DEP_4) | instskip(NEXT) | instid1(VALU_DEP_3)
	v_or_b32_e32 v11, 0x1000, v4
	v_lshrrev_b32_e32 v12, v8, v10
	s_delay_alu instid0(VALU_DEP_2) | instskip(NEXT) | instid1(VALU_DEP_2)
	v_lshrrev_b32_e32 v13, v6, v11
	v_lshlrev_b32_e32 v8, v8, v12
	s_delay_alu instid0(VALU_DEP_2) | instskip(NEXT) | instid1(VALU_DEP_2)
	v_lshlrev_b32_e32 v6, v6, v13
	v_cmp_ne_u32_e32 vcc_lo, v8, v10
	v_lshl_or_b32 v10, v7, 12, v2
	s_wait_alu 0xfffd
	v_cndmask_b32_e64 v8, 0, 1, vcc_lo
	v_cmp_ne_u32_e32 vcc_lo, v6, v11
	v_lshl_or_b32 v11, v9, 12, v4
	s_delay_alu instid0(VALU_DEP_3) | instskip(SKIP_3) | instid1(VALU_DEP_2)
	v_or_b32_e32 v8, v12, v8
	s_wait_alu 0xfffd
	v_cndmask_b32_e64 v6, 0, 1, vcc_lo
	v_cmp_gt_i32_e32 vcc_lo, 1, v7
	v_or_b32_e32 v6, v13, v6
	s_wait_alu 0xfffd
	v_cndmask_b32_e32 v8, v10, v8, vcc_lo
	v_cmp_gt_i32_e32 vcc_lo, 1, v9
	s_delay_alu instid0(VALU_DEP_2)
	v_and_b32_e32 v10, 7, v8
	s_wait_alu 0xfffd
	v_cndmask_b32_e32 v6, v11, v6, vcc_lo
	v_cmp_ne_u32_e32 vcc_lo, 0, v2
	v_lshrrev_b32_e32 v8, 2, v8
	v_cmp_eq_u32_e64 s0, 3, v10
	s_delay_alu instid0(VALU_DEP_4)
	v_and_b32_e32 v11, 7, v6
	s_wait_alu 0xfffd
	v_cndmask_b32_e64 v2, 0, 1, vcc_lo
	v_cmp_ne_u32_e32 vcc_lo, 0, v4
	v_lshrrev_b32_e32 v6, 2, v6
	v_cmp_lt_i32_e64 s1, 5, v11
	v_cmp_eq_u32_e64 s2, 3, v11
	s_wait_alu 0xfffd
	v_cndmask_b32_e64 v4, 0, 1, vcc_lo
	v_cmp_lt_i32_e32 vcc_lo, 5, v10
	v_lshl_or_b32 v2, v2, 9, 0x7c00
	s_delay_alu instid0(VALU_DEP_3)
	v_lshl_or_b32 v4, v4, 9, 0x7c00
	s_or_b32 vcc_lo, s0, vcc_lo
	s_wait_alu 0xfffe
	v_add_co_ci_u32_e32 v8, vcc_lo, 0, v8, vcc_lo
	s_or_b32 vcc_lo, s2, s1
	s_wait_alu 0xfffe
	v_add_co_ci_u32_e32 v6, vcc_lo, 0, v6, vcc_lo
	v_cmp_gt_i32_e32 vcc_lo, 31, v7
	s_wait_alu 0xfffd
	v_cndmask_b32_e32 v8, 0x7c00, v8, vcc_lo
	v_cmp_gt_i32_e32 vcc_lo, 31, v9
	s_wait_alu 0xfffd
	v_cndmask_b32_e32 v6, 0x7c00, v6, vcc_lo
	v_cmp_eq_u32_e32 vcc_lo, 0x40f, v7
	s_wait_alu 0xfffd
	v_cndmask_b32_e32 v2, v8, v2, vcc_lo
	v_cmp_eq_u32_e32 vcc_lo, 0x40f, v9
	s_delay_alu instid0(VALU_DEP_2)
	v_and_or_b32 v2, 0x8000, v3, v2
	s_wait_alu 0xfffd
	v_cndmask_b32_e32 v4, v6, v4, vcc_lo
	v_add_co_u32 v0, vcc_lo, v0, s6
	s_wait_alu 0xfffd
	v_add_co_ci_u32_e32 v1, vcc_lo, s7, v1, vcc_lo
	s_delay_alu instid0(VALU_DEP_3) | instskip(SKIP_1) | instid1(VALU_DEP_1)
	v_and_or_b32 v3, 0x8000, v5, v4
	v_and_b32_e32 v2, 0xffff, v2
	v_lshl_or_b32 v2, v3, 16, v2
	global_store_b32 v[0:1], v2, off
.LBB0_15:
	s_nop 0
	s_sendmsg sendmsg(MSG_DEALLOC_VGPRS)
	s_endpgm
	.section	.rodata,"a",@progbits
	.p2align	6, 0x0
	.amdhsa_kernel bluestein_single_back_len1377_dim1_half_op_CI_CI
		.amdhsa_group_segment_fixed_size 5508
		.amdhsa_private_segment_fixed_size 244
		.amdhsa_kernarg_size 104
		.amdhsa_user_sgpr_count 2
		.amdhsa_user_sgpr_dispatch_ptr 0
		.amdhsa_user_sgpr_queue_ptr 0
		.amdhsa_user_sgpr_kernarg_segment_ptr 1
		.amdhsa_user_sgpr_dispatch_id 0
		.amdhsa_user_sgpr_private_segment_size 0
		.amdhsa_wavefront_size32 1
		.amdhsa_uses_dynamic_stack 0
		.amdhsa_enable_private_segment 1
		.amdhsa_system_sgpr_workgroup_id_x 1
		.amdhsa_system_sgpr_workgroup_id_y 0
		.amdhsa_system_sgpr_workgroup_id_z 0
		.amdhsa_system_sgpr_workgroup_info 0
		.amdhsa_system_vgpr_workitem_id 0
		.amdhsa_next_free_vgpr 256
		.amdhsa_next_free_sgpr 16
		.amdhsa_reserve_vcc 1
		.amdhsa_float_round_mode_32 0
		.amdhsa_float_round_mode_16_64 0
		.amdhsa_float_denorm_mode_32 3
		.amdhsa_float_denorm_mode_16_64 3
		.amdhsa_fp16_overflow 0
		.amdhsa_workgroup_processor_mode 1
		.amdhsa_memory_ordered 1
		.amdhsa_forward_progress 0
		.amdhsa_round_robin_scheduling 0
		.amdhsa_exception_fp_ieee_invalid_op 0
		.amdhsa_exception_fp_denorm_src 0
		.amdhsa_exception_fp_ieee_div_zero 0
		.amdhsa_exception_fp_ieee_overflow 0
		.amdhsa_exception_fp_ieee_underflow 0
		.amdhsa_exception_fp_ieee_inexact 0
		.amdhsa_exception_int_div_zero 0
	.end_amdhsa_kernel
	.text
.Lfunc_end0:
	.size	bluestein_single_back_len1377_dim1_half_op_CI_CI, .Lfunc_end0-bluestein_single_back_len1377_dim1_half_op_CI_CI
                                        ; -- End function
	.section	.AMDGPU.csdata,"",@progbits
; Kernel info:
; codeLenInByte = 74280
; NumSgprs: 18
; NumVgprs: 256
; ScratchSize: 244
; MemoryBound: 0
; FloatMode: 240
; IeeeMode: 1
; LDSByteSize: 5508 bytes/workgroup (compile time only)
; SGPRBlocks: 2
; VGPRBlocks: 31
; NumSGPRsForWavesPerEU: 18
; NumVGPRsForWavesPerEU: 256
; Occupancy: 5
; WaveLimiterHint : 1
; COMPUTE_PGM_RSRC2:SCRATCH_EN: 1
; COMPUTE_PGM_RSRC2:USER_SGPR: 2
; COMPUTE_PGM_RSRC2:TRAP_HANDLER: 0
; COMPUTE_PGM_RSRC2:TGID_X_EN: 1
; COMPUTE_PGM_RSRC2:TGID_Y_EN: 0
; COMPUTE_PGM_RSRC2:TGID_Z_EN: 0
; COMPUTE_PGM_RSRC2:TIDIG_COMP_CNT: 0
	.text
	.p2alignl 7, 3214868480
	.fill 96, 4, 3214868480
	.type	__hip_cuid_b5b69a6331242412,@object ; @__hip_cuid_b5b69a6331242412
	.section	.bss,"aw",@nobits
	.globl	__hip_cuid_b5b69a6331242412
__hip_cuid_b5b69a6331242412:
	.byte	0                               ; 0x0
	.size	__hip_cuid_b5b69a6331242412, 1

	.ident	"AMD clang version 19.0.0git (https://github.com/RadeonOpenCompute/llvm-project roc-6.4.0 25133 c7fe45cf4b819c5991fe208aaa96edf142730f1d)"
	.section	".note.GNU-stack","",@progbits
	.addrsig
	.addrsig_sym __hip_cuid_b5b69a6331242412
	.amdgpu_metadata
---
amdhsa.kernels:
  - .args:
      - .actual_access:  read_only
        .address_space:  global
        .offset:         0
        .size:           8
        .value_kind:     global_buffer
      - .actual_access:  read_only
        .address_space:  global
        .offset:         8
        .size:           8
        .value_kind:     global_buffer
      - .actual_access:  read_only
        .address_space:  global
        .offset:         16
        .size:           8
        .value_kind:     global_buffer
      - .actual_access:  read_only
        .address_space:  global
        .offset:         24
        .size:           8
        .value_kind:     global_buffer
      - .actual_access:  read_only
        .address_space:  global
        .offset:         32
        .size:           8
        .value_kind:     global_buffer
      - .offset:         40
        .size:           8
        .value_kind:     by_value
      - .address_space:  global
        .offset:         48
        .size:           8
        .value_kind:     global_buffer
      - .address_space:  global
        .offset:         56
        .size:           8
        .value_kind:     global_buffer
      - .address_space:  global
        .offset:         64
        .size:           8
        .value_kind:     global_buffer
      - .address_space:  global
        .offset:         72
        .size:           8
        .value_kind:     global_buffer
      - .offset:         80
        .size:           4
        .value_kind:     by_value
      - .address_space:  global
        .offset:         88
        .size:           8
        .value_kind:     global_buffer
      - .address_space:  global
        .offset:         96
        .size:           8
        .value_kind:     global_buffer
    .group_segment_fixed_size: 5508
    .kernarg_segment_align: 8
    .kernarg_segment_size: 104
    .language:       OpenCL C
    .language_version:
      - 2
      - 0
    .max_flat_workgroup_size: 51
    .name:           bluestein_single_back_len1377_dim1_half_op_CI_CI
    .private_segment_fixed_size: 244
    .sgpr_count:     18
    .sgpr_spill_count: 0
    .symbol:         bluestein_single_back_len1377_dim1_half_op_CI_CI.kd
    .uniform_work_group_size: 1
    .uses_dynamic_stack: false
    .vgpr_count:     256
    .vgpr_spill_count: 60
    .wavefront_size: 32
    .workgroup_processor_mode: 1
amdhsa.target:   amdgcn-amd-amdhsa--gfx1201
amdhsa.version:
  - 1
  - 2
...

	.end_amdgpu_metadata
